;; amdgpu-corpus repo=ROCm/rocSOLVER kind=compiled arch=gfx906 opt=O3
	.amdgcn_target "amdgcn-amd-amdhsa--gfx906"
	.amdhsa_code_object_version 6
	.section	.text._ZN9rocsolver6v33100L16mfma_gemm_kernelIdiPKdPdS4_S4_EEv18rocblas_operation_S5_T0_S6_S6_T1_T2_lS6_S6_lT3_lS6_S6_lS7_T4_lS6_S6_l,"axG",@progbits,_ZN9rocsolver6v33100L16mfma_gemm_kernelIdiPKdPdS4_S4_EEv18rocblas_operation_S5_T0_S6_S6_T1_T2_lS6_S6_lT3_lS6_S6_lS7_T4_lS6_S6_l,comdat
	.globl	_ZN9rocsolver6v33100L16mfma_gemm_kernelIdiPKdPdS4_S4_EEv18rocblas_operation_S5_T0_S6_S6_T1_T2_lS6_S6_lT3_lS6_S6_lS7_T4_lS6_S6_l ; -- Begin function _ZN9rocsolver6v33100L16mfma_gemm_kernelIdiPKdPdS4_S4_EEv18rocblas_operation_S5_T0_S6_S6_T1_T2_lS6_S6_lT3_lS6_S6_lS7_T4_lS6_S6_l
	.p2align	8
	.type	_ZN9rocsolver6v33100L16mfma_gemm_kernelIdiPKdPdS4_S4_EEv18rocblas_operation_S5_T0_S6_S6_T1_T2_lS6_S6_lT3_lS6_S6_lS7_T4_lS6_S6_l,@function
_ZN9rocsolver6v33100L16mfma_gemm_kernelIdiPKdPdS4_S4_EEv18rocblas_operation_S5_T0_S6_S6_T1_T2_lS6_S6_lT3_lS6_S6_lS7_T4_lS6_S6_l: ; @_ZN9rocsolver6v33100L16mfma_gemm_kernelIdiPKdPdS4_S4_EEv18rocblas_operation_S5_T0_S6_S6_T1_T2_lS6_S6_lT3_lS6_S6_lS7_T4_lS6_S6_l
; %bb.0:
	s_endpgm
	.section	.rodata,"a",@progbits
	.p2align	6, 0x0
	.amdhsa_kernel _ZN9rocsolver6v33100L16mfma_gemm_kernelIdiPKdPdS4_S4_EEv18rocblas_operation_S5_T0_S6_S6_T1_T2_lS6_S6_lT3_lS6_S6_lS7_T4_lS6_S6_l
		.amdhsa_group_segment_fixed_size 0
		.amdhsa_private_segment_fixed_size 0
		.amdhsa_kernarg_size 136
		.amdhsa_user_sgpr_count 6
		.amdhsa_user_sgpr_private_segment_buffer 1
		.amdhsa_user_sgpr_dispatch_ptr 0
		.amdhsa_user_sgpr_queue_ptr 0
		.amdhsa_user_sgpr_kernarg_segment_ptr 1
		.amdhsa_user_sgpr_dispatch_id 0
		.amdhsa_user_sgpr_flat_scratch_init 0
		.amdhsa_user_sgpr_private_segment_size 0
		.amdhsa_uses_dynamic_stack 0
		.amdhsa_system_sgpr_private_segment_wavefront_offset 0
		.amdhsa_system_sgpr_workgroup_id_x 1
		.amdhsa_system_sgpr_workgroup_id_y 0
		.amdhsa_system_sgpr_workgroup_id_z 0
		.amdhsa_system_sgpr_workgroup_info 0
		.amdhsa_system_vgpr_workitem_id 0
		.amdhsa_next_free_vgpr 1
		.amdhsa_next_free_sgpr 0
		.amdhsa_reserve_vcc 0
		.amdhsa_reserve_flat_scratch 0
		.amdhsa_float_round_mode_32 0
		.amdhsa_float_round_mode_16_64 0
		.amdhsa_float_denorm_mode_32 3
		.amdhsa_float_denorm_mode_16_64 3
		.amdhsa_dx10_clamp 1
		.amdhsa_ieee_mode 1
		.amdhsa_fp16_overflow 0
		.amdhsa_exception_fp_ieee_invalid_op 0
		.amdhsa_exception_fp_denorm_src 0
		.amdhsa_exception_fp_ieee_div_zero 0
		.amdhsa_exception_fp_ieee_overflow 0
		.amdhsa_exception_fp_ieee_underflow 0
		.amdhsa_exception_fp_ieee_inexact 0
		.amdhsa_exception_int_div_zero 0
	.end_amdhsa_kernel
	.section	.text._ZN9rocsolver6v33100L16mfma_gemm_kernelIdiPKdPdS4_S4_EEv18rocblas_operation_S5_T0_S6_S6_T1_T2_lS6_S6_lT3_lS6_S6_lS7_T4_lS6_S6_l,"axG",@progbits,_ZN9rocsolver6v33100L16mfma_gemm_kernelIdiPKdPdS4_S4_EEv18rocblas_operation_S5_T0_S6_S6_T1_T2_lS6_S6_lT3_lS6_S6_lS7_T4_lS6_S6_l,comdat
.Lfunc_end0:
	.size	_ZN9rocsolver6v33100L16mfma_gemm_kernelIdiPKdPdS4_S4_EEv18rocblas_operation_S5_T0_S6_S6_T1_T2_lS6_S6_lT3_lS6_S6_lS7_T4_lS6_S6_l, .Lfunc_end0-_ZN9rocsolver6v33100L16mfma_gemm_kernelIdiPKdPdS4_S4_EEv18rocblas_operation_S5_T0_S6_S6_T1_T2_lS6_S6_lT3_lS6_S6_lS7_T4_lS6_S6_l
                                        ; -- End function
	.set _ZN9rocsolver6v33100L16mfma_gemm_kernelIdiPKdPdS4_S4_EEv18rocblas_operation_S5_T0_S6_S6_T1_T2_lS6_S6_lT3_lS6_S6_lS7_T4_lS6_S6_l.num_vgpr, 0
	.set _ZN9rocsolver6v33100L16mfma_gemm_kernelIdiPKdPdS4_S4_EEv18rocblas_operation_S5_T0_S6_S6_T1_T2_lS6_S6_lT3_lS6_S6_lS7_T4_lS6_S6_l.num_agpr, 0
	.set _ZN9rocsolver6v33100L16mfma_gemm_kernelIdiPKdPdS4_S4_EEv18rocblas_operation_S5_T0_S6_S6_T1_T2_lS6_S6_lT3_lS6_S6_lS7_T4_lS6_S6_l.numbered_sgpr, 0
	.set _ZN9rocsolver6v33100L16mfma_gemm_kernelIdiPKdPdS4_S4_EEv18rocblas_operation_S5_T0_S6_S6_T1_T2_lS6_S6_lT3_lS6_S6_lS7_T4_lS6_S6_l.num_named_barrier, 0
	.set _ZN9rocsolver6v33100L16mfma_gemm_kernelIdiPKdPdS4_S4_EEv18rocblas_operation_S5_T0_S6_S6_T1_T2_lS6_S6_lT3_lS6_S6_lS7_T4_lS6_S6_l.private_seg_size, 0
	.set _ZN9rocsolver6v33100L16mfma_gemm_kernelIdiPKdPdS4_S4_EEv18rocblas_operation_S5_T0_S6_S6_T1_T2_lS6_S6_lT3_lS6_S6_lS7_T4_lS6_S6_l.uses_vcc, 0
	.set _ZN9rocsolver6v33100L16mfma_gemm_kernelIdiPKdPdS4_S4_EEv18rocblas_operation_S5_T0_S6_S6_T1_T2_lS6_S6_lT3_lS6_S6_lS7_T4_lS6_S6_l.uses_flat_scratch, 0
	.set _ZN9rocsolver6v33100L16mfma_gemm_kernelIdiPKdPdS4_S4_EEv18rocblas_operation_S5_T0_S6_S6_T1_T2_lS6_S6_lT3_lS6_S6_lS7_T4_lS6_S6_l.has_dyn_sized_stack, 0
	.set _ZN9rocsolver6v33100L16mfma_gemm_kernelIdiPKdPdS4_S4_EEv18rocblas_operation_S5_T0_S6_S6_T1_T2_lS6_S6_lT3_lS6_S6_lS7_T4_lS6_S6_l.has_recursion, 0
	.set _ZN9rocsolver6v33100L16mfma_gemm_kernelIdiPKdPdS4_S4_EEv18rocblas_operation_S5_T0_S6_S6_T1_T2_lS6_S6_lT3_lS6_S6_lS7_T4_lS6_S6_l.has_indirect_call, 0
	.section	.AMDGPU.csdata,"",@progbits
; Kernel info:
; codeLenInByte = 4
; TotalNumSgprs: 4
; NumVgprs: 0
; ScratchSize: 0
; MemoryBound: 0
; FloatMode: 240
; IeeeMode: 1
; LDSByteSize: 0 bytes/workgroup (compile time only)
; SGPRBlocks: 0
; VGPRBlocks: 0
; NumSGPRsForWavesPerEU: 4
; NumVGPRsForWavesPerEU: 1
; Occupancy: 10
; WaveLimiterHint : 0
; COMPUTE_PGM_RSRC2:SCRATCH_EN: 0
; COMPUTE_PGM_RSRC2:USER_SGPR: 6
; COMPUTE_PGM_RSRC2:TRAP_HANDLER: 0
; COMPUTE_PGM_RSRC2:TGID_X_EN: 1
; COMPUTE_PGM_RSRC2:TGID_Y_EN: 0
; COMPUTE_PGM_RSRC2:TGID_Z_EN: 0
; COMPUTE_PGM_RSRC2:TIDIG_COMP_CNT: 0
	.section	.text._ZN9rocsolver6v33100L16mfma_gemm_kernelIdidPdS2_S2_EEv18rocblas_operation_S3_T0_S4_S4_T1_T2_lS4_S4_lT3_lS4_S4_lS5_T4_lS4_S4_l,"axG",@progbits,_ZN9rocsolver6v33100L16mfma_gemm_kernelIdidPdS2_S2_EEv18rocblas_operation_S3_T0_S4_S4_T1_T2_lS4_S4_lT3_lS4_S4_lS5_T4_lS4_S4_l,comdat
	.globl	_ZN9rocsolver6v33100L16mfma_gemm_kernelIdidPdS2_S2_EEv18rocblas_operation_S3_T0_S4_S4_T1_T2_lS4_S4_lT3_lS4_S4_lS5_T4_lS4_S4_l ; -- Begin function _ZN9rocsolver6v33100L16mfma_gemm_kernelIdidPdS2_S2_EEv18rocblas_operation_S3_T0_S4_S4_T1_T2_lS4_S4_lT3_lS4_S4_lS5_T4_lS4_S4_l
	.p2align	8
	.type	_ZN9rocsolver6v33100L16mfma_gemm_kernelIdidPdS2_S2_EEv18rocblas_operation_S3_T0_S4_S4_T1_T2_lS4_S4_lT3_lS4_S4_lS5_T4_lS4_S4_l,@function
_ZN9rocsolver6v33100L16mfma_gemm_kernelIdidPdS2_S2_EEv18rocblas_operation_S3_T0_S4_S4_T1_T2_lS4_S4_lT3_lS4_S4_lS5_T4_lS4_S4_l: ; @_ZN9rocsolver6v33100L16mfma_gemm_kernelIdidPdS2_S2_EEv18rocblas_operation_S3_T0_S4_S4_T1_T2_lS4_S4_lT3_lS4_S4_lS5_T4_lS4_S4_l
; %bb.0:
	s_endpgm
	.section	.rodata,"a",@progbits
	.p2align	6, 0x0
	.amdhsa_kernel _ZN9rocsolver6v33100L16mfma_gemm_kernelIdidPdS2_S2_EEv18rocblas_operation_S3_T0_S4_S4_T1_T2_lS4_S4_lT3_lS4_S4_lS5_T4_lS4_S4_l
		.amdhsa_group_segment_fixed_size 0
		.amdhsa_private_segment_fixed_size 0
		.amdhsa_kernarg_size 136
		.amdhsa_user_sgpr_count 6
		.amdhsa_user_sgpr_private_segment_buffer 1
		.amdhsa_user_sgpr_dispatch_ptr 0
		.amdhsa_user_sgpr_queue_ptr 0
		.amdhsa_user_sgpr_kernarg_segment_ptr 1
		.amdhsa_user_sgpr_dispatch_id 0
		.amdhsa_user_sgpr_flat_scratch_init 0
		.amdhsa_user_sgpr_private_segment_size 0
		.amdhsa_uses_dynamic_stack 0
		.amdhsa_system_sgpr_private_segment_wavefront_offset 0
		.amdhsa_system_sgpr_workgroup_id_x 1
		.amdhsa_system_sgpr_workgroup_id_y 0
		.amdhsa_system_sgpr_workgroup_id_z 0
		.amdhsa_system_sgpr_workgroup_info 0
		.amdhsa_system_vgpr_workitem_id 0
		.amdhsa_next_free_vgpr 1
		.amdhsa_next_free_sgpr 0
		.amdhsa_reserve_vcc 0
		.amdhsa_reserve_flat_scratch 0
		.amdhsa_float_round_mode_32 0
		.amdhsa_float_round_mode_16_64 0
		.amdhsa_float_denorm_mode_32 3
		.amdhsa_float_denorm_mode_16_64 3
		.amdhsa_dx10_clamp 1
		.amdhsa_ieee_mode 1
		.amdhsa_fp16_overflow 0
		.amdhsa_exception_fp_ieee_invalid_op 0
		.amdhsa_exception_fp_denorm_src 0
		.amdhsa_exception_fp_ieee_div_zero 0
		.amdhsa_exception_fp_ieee_overflow 0
		.amdhsa_exception_fp_ieee_underflow 0
		.amdhsa_exception_fp_ieee_inexact 0
		.amdhsa_exception_int_div_zero 0
	.end_amdhsa_kernel
	.section	.text._ZN9rocsolver6v33100L16mfma_gemm_kernelIdidPdS2_S2_EEv18rocblas_operation_S3_T0_S4_S4_T1_T2_lS4_S4_lT3_lS4_S4_lS5_T4_lS4_S4_l,"axG",@progbits,_ZN9rocsolver6v33100L16mfma_gemm_kernelIdidPdS2_S2_EEv18rocblas_operation_S3_T0_S4_S4_T1_T2_lS4_S4_lT3_lS4_S4_lS5_T4_lS4_S4_l,comdat
.Lfunc_end1:
	.size	_ZN9rocsolver6v33100L16mfma_gemm_kernelIdidPdS2_S2_EEv18rocblas_operation_S3_T0_S4_S4_T1_T2_lS4_S4_lT3_lS4_S4_lS5_T4_lS4_S4_l, .Lfunc_end1-_ZN9rocsolver6v33100L16mfma_gemm_kernelIdidPdS2_S2_EEv18rocblas_operation_S3_T0_S4_S4_T1_T2_lS4_S4_lT3_lS4_S4_lS5_T4_lS4_S4_l
                                        ; -- End function
	.set _ZN9rocsolver6v33100L16mfma_gemm_kernelIdidPdS2_S2_EEv18rocblas_operation_S3_T0_S4_S4_T1_T2_lS4_S4_lT3_lS4_S4_lS5_T4_lS4_S4_l.num_vgpr, 0
	.set _ZN9rocsolver6v33100L16mfma_gemm_kernelIdidPdS2_S2_EEv18rocblas_operation_S3_T0_S4_S4_T1_T2_lS4_S4_lT3_lS4_S4_lS5_T4_lS4_S4_l.num_agpr, 0
	.set _ZN9rocsolver6v33100L16mfma_gemm_kernelIdidPdS2_S2_EEv18rocblas_operation_S3_T0_S4_S4_T1_T2_lS4_S4_lT3_lS4_S4_lS5_T4_lS4_S4_l.numbered_sgpr, 0
	.set _ZN9rocsolver6v33100L16mfma_gemm_kernelIdidPdS2_S2_EEv18rocblas_operation_S3_T0_S4_S4_T1_T2_lS4_S4_lT3_lS4_S4_lS5_T4_lS4_S4_l.num_named_barrier, 0
	.set _ZN9rocsolver6v33100L16mfma_gemm_kernelIdidPdS2_S2_EEv18rocblas_operation_S3_T0_S4_S4_T1_T2_lS4_S4_lT3_lS4_S4_lS5_T4_lS4_S4_l.private_seg_size, 0
	.set _ZN9rocsolver6v33100L16mfma_gemm_kernelIdidPdS2_S2_EEv18rocblas_operation_S3_T0_S4_S4_T1_T2_lS4_S4_lT3_lS4_S4_lS5_T4_lS4_S4_l.uses_vcc, 0
	.set _ZN9rocsolver6v33100L16mfma_gemm_kernelIdidPdS2_S2_EEv18rocblas_operation_S3_T0_S4_S4_T1_T2_lS4_S4_lT3_lS4_S4_lS5_T4_lS4_S4_l.uses_flat_scratch, 0
	.set _ZN9rocsolver6v33100L16mfma_gemm_kernelIdidPdS2_S2_EEv18rocblas_operation_S3_T0_S4_S4_T1_T2_lS4_S4_lT3_lS4_S4_lS5_T4_lS4_S4_l.has_dyn_sized_stack, 0
	.set _ZN9rocsolver6v33100L16mfma_gemm_kernelIdidPdS2_S2_EEv18rocblas_operation_S3_T0_S4_S4_T1_T2_lS4_S4_lT3_lS4_S4_lS5_T4_lS4_S4_l.has_recursion, 0
	.set _ZN9rocsolver6v33100L16mfma_gemm_kernelIdidPdS2_S2_EEv18rocblas_operation_S3_T0_S4_S4_T1_T2_lS4_S4_lT3_lS4_S4_lS5_T4_lS4_S4_l.has_indirect_call, 0
	.section	.AMDGPU.csdata,"",@progbits
; Kernel info:
; codeLenInByte = 4
; TotalNumSgprs: 4
; NumVgprs: 0
; ScratchSize: 0
; MemoryBound: 0
; FloatMode: 240
; IeeeMode: 1
; LDSByteSize: 0 bytes/workgroup (compile time only)
; SGPRBlocks: 0
; VGPRBlocks: 0
; NumSGPRsForWavesPerEU: 4
; NumVGPRsForWavesPerEU: 1
; Occupancy: 10
; WaveLimiterHint : 0
; COMPUTE_PGM_RSRC2:SCRATCH_EN: 0
; COMPUTE_PGM_RSRC2:USER_SGPR: 6
; COMPUTE_PGM_RSRC2:TRAP_HANDLER: 0
; COMPUTE_PGM_RSRC2:TGID_X_EN: 1
; COMPUTE_PGM_RSRC2:TGID_Y_EN: 0
; COMPUTE_PGM_RSRC2:TGID_Z_EN: 0
; COMPUTE_PGM_RSRC2:TIDIG_COMP_CNT: 0
	.section	.text._ZN9rocsolver6v33100L11gemm_kernelIdiPKdPdS4_S4_EEvT0_S5_S5_T1_bT2_lS5_S5_lbT3_lS5_S5_lS6_T4_lS5_S5_l,"axG",@progbits,_ZN9rocsolver6v33100L11gemm_kernelIdiPKdPdS4_S4_EEvT0_S5_S5_T1_bT2_lS5_S5_lbT3_lS5_S5_lS6_T4_lS5_S5_l,comdat
	.globl	_ZN9rocsolver6v33100L11gemm_kernelIdiPKdPdS4_S4_EEvT0_S5_S5_T1_bT2_lS5_S5_lbT3_lS5_S5_lS6_T4_lS5_S5_l ; -- Begin function _ZN9rocsolver6v33100L11gemm_kernelIdiPKdPdS4_S4_EEvT0_S5_S5_T1_bT2_lS5_S5_lbT3_lS5_S5_lS6_T4_lS5_S5_l
	.p2align	8
	.type	_ZN9rocsolver6v33100L11gemm_kernelIdiPKdPdS4_S4_EEvT0_S5_S5_T1_bT2_lS5_S5_lbT3_lS5_S5_lS6_T4_lS5_S5_l,@function
_ZN9rocsolver6v33100L11gemm_kernelIdiPKdPdS4_S4_EEvT0_S5_S5_T1_bT2_lS5_S5_lbT3_lS5_S5_lS6_T4_lS5_S5_l: ; @_ZN9rocsolver6v33100L11gemm_kernelIdiPKdPdS4_S4_EEvT0_S5_S5_T1_bT2_lS5_S5_lbT3_lS5_S5_lS6_T4_lS5_S5_l
; %bb.0:
	s_load_dword s9, s[4:5], 0x9c
	s_load_dwordx4 s[0:3], s[4:5], 0x0
	s_waitcnt lgkmcnt(0)
	s_lshr_b32 s3, s9, 16
	s_and_b32 s9, s9, 0xffff
	s_mul_i32 s6, s6, s9
	s_mul_i32 s7, s7, s3
	v_add_u32_e32 v7, s6, v0
	v_add_u32_e32 v6, s7, v1
	v_cmp_gt_i32_e32 vcc, s0, v7
	v_cmp_gt_i32_e64 s[0:1], s1, v6
	s_and_b64 s[0:1], vcc, s[0:1]
	s_and_saveexec_b64 s[6:7], s[0:1]
	s_cbranch_execz .LBB2_6
; %bb.1:
	s_load_dwordx2 s[0:1], s[4:5], 0x10
	s_load_dwordx8 s[12:19], s[4:5], 0x60
	s_ashr_i32 s9, s8, 31
	s_cmp_lt_i32 s2, 1
	s_cbranch_scc1 .LBB2_4
; %bb.2:
	s_load_dwordx8 s[20:27], s[4:5], 0x20
	s_load_dwordx2 s[6:7], s[4:5], 0x58
	s_load_dwordx4 s[28:31], s[4:5], 0x48
	s_waitcnt lgkmcnt(0)
	s_mul_i32 s3, s12, s9
	s_mul_i32 s10, s12, s8
	v_mul_lo_u32 v0, v7, s24
	v_mul_lo_u32 v1, v6, s7
	s_mul_hi_u32 s7, s12, s8
	s_add_i32 s3, s7, s3
	s_mul_i32 s7, s13, s8
	s_add_i32 s11, s3, s7
	s_lshl_b64 s[10:11], s[10:11], 3
	s_lshl_b64 s[12:13], s[30:31], 3
	s_add_u32 s3, s10, s12
	v_ashrrev_i32_e32 v2, 31, v1
	s_addc_u32 s7, s11, s13
	v_lshlrev_b64 v[2:3], 3, v[1:2]
	s_add_u32 s3, s28, s3
	v_add_co_u32_e32 v2, vcc, s3, v2
	s_mul_i32 s3, s26, s9
	s_mul_hi_u32 s10, s26, s8
	s_addc_u32 s7, s29, s7
	s_add_i32 s3, s10, s3
	s_mul_i32 s10, s27, s8
	v_mov_b32_e32 v1, s7
	s_ashr_i32 s7, s6, 31
	s_add_i32 s11, s3, s10
	s_mul_i32 s10, s26, s8
	s_lshl_b64 s[6:7], s[6:7], 3
	s_lshl_b64 s[10:11], s[10:11], 3
	;; [unrolled: 1-line block ×3, first 2 shown]
	s_add_u32 s3, s10, s12
	v_addc_co_u32_e32 v3, vcc, v1, v3, vcc
	s_addc_u32 s10, s11, s13
	v_ashrrev_i32_e32 v1, 31, v0
	v_lshlrev_b64 v[0:1], 3, v[0:1]
	s_add_u32 s3, s20, s3
	s_addc_u32 s10, s21, s10
	v_mov_b32_e32 v5, s10
	v_add_co_u32_e32 v4, vcc, s3, v0
	s_ashr_i32 s11, s25, 31
	s_mov_b32 s10, s25
	v_addc_co_u32_e32 v5, vcc, v5, v1, vcc
	s_lshl_b64 s[10:11], s[10:11], 3
	v_mov_b32_e32 v0, 0
	v_mov_b32_e32 v1, 0
	v_mov_b32_e32 v8, s7
	v_mov_b32_e32 v9, s11
.LBB2_3:                                ; =>This Inner Loop Header: Depth=1
	global_load_dwordx2 v[10:11], v[4:5], off
	global_load_dwordx2 v[12:13], v[2:3], off
	v_add_co_u32_e32 v2, vcc, s6, v2
	v_addc_co_u32_e32 v3, vcc, v3, v8, vcc
	v_add_co_u32_e32 v4, vcc, s10, v4
	s_add_i32 s2, s2, -1
	s_cmp_eq_u32 s2, 0
	v_addc_co_u32_e32 v5, vcc, v5, v9, vcc
	s_waitcnt vmcnt(0)
	v_fma_f64 v[0:1], v[10:11], v[12:13], v[0:1]
	s_cbranch_scc0 .LBB2_3
	s_branch .LBB2_5
.LBB2_4:
	v_mov_b32_e32 v0, 0
	v_mov_b32_e32 v1, 0
.LBB2_5:
	s_waitcnt lgkmcnt(0)
	s_load_dwordx2 s[2:3], s[0:1], 0x0
	s_load_dwordx2 s[6:7], s[14:15], 0x0
                                        ; kill: killed $sgpr0_sgpr1
                                        ; kill: killed $sgpr14_sgpr15
	s_nop 0
	s_load_dwordx4 s[12:15], s[4:5], 0x80
	s_waitcnt lgkmcnt(0)
	s_mul_i32 s1, s14, s9
	s_mul_hi_u32 s4, s14, s8
	s_mul_i32 s5, s15, s8
	v_mul_lo_u32 v2, v7, s12
	s_add_i32 s1, s4, s1
	s_mul_i32 s0, s14, s8
	s_add_i32 s1, s1, s5
	s_lshl_b64 s[0:1], s[0:1], 3
	s_add_u32 s4, s16, s0
	s_addc_u32 s5, s17, s1
	v_mad_u64_u32 v[2:3], s[0:1], v6, s13, v[2:3]
	s_lshl_b64 s[0:1], s[18:19], 3
	s_add_u32 s0, s4, s0
	v_ashrrev_i32_e32 v3, 31, v2
	v_lshlrev_b64 v[2:3], 3, v[2:3]
	s_addc_u32 s1, s5, s1
	v_mov_b32_e32 v4, s1
	v_add_co_u32_e32 v2, vcc, s0, v2
	v_addc_co_u32_e32 v3, vcc, v4, v3, vcc
	global_load_dwordx2 v[4:5], v[2:3], off
	s_waitcnt vmcnt(0)
	v_mul_f64 v[4:5], s[6:7], v[4:5]
	v_fma_f64 v[0:1], s[2:3], v[0:1], v[4:5]
	global_store_dwordx2 v[2:3], v[0:1], off
.LBB2_6:
	s_endpgm
	.section	.rodata,"a",@progbits
	.p2align	6, 0x0
	.amdhsa_kernel _ZN9rocsolver6v33100L11gemm_kernelIdiPKdPdS4_S4_EEvT0_S5_S5_T1_bT2_lS5_S5_lbT3_lS5_S5_lS6_T4_lS5_S5_l
		.amdhsa_group_segment_fixed_size 0
		.amdhsa_private_segment_fixed_size 0
		.amdhsa_kernarg_size 400
		.amdhsa_user_sgpr_count 6
		.amdhsa_user_sgpr_private_segment_buffer 1
		.amdhsa_user_sgpr_dispatch_ptr 0
		.amdhsa_user_sgpr_queue_ptr 0
		.amdhsa_user_sgpr_kernarg_segment_ptr 1
		.amdhsa_user_sgpr_dispatch_id 0
		.amdhsa_user_sgpr_flat_scratch_init 0
		.amdhsa_user_sgpr_private_segment_size 0
		.amdhsa_uses_dynamic_stack 0
		.amdhsa_system_sgpr_private_segment_wavefront_offset 0
		.amdhsa_system_sgpr_workgroup_id_x 1
		.amdhsa_system_sgpr_workgroup_id_y 1
		.amdhsa_system_sgpr_workgroup_id_z 1
		.amdhsa_system_sgpr_workgroup_info 0
		.amdhsa_system_vgpr_workitem_id 1
		.amdhsa_next_free_vgpr 14
		.amdhsa_next_free_sgpr 32
		.amdhsa_reserve_vcc 1
		.amdhsa_reserve_flat_scratch 0
		.amdhsa_float_round_mode_32 0
		.amdhsa_float_round_mode_16_64 0
		.amdhsa_float_denorm_mode_32 3
		.amdhsa_float_denorm_mode_16_64 3
		.amdhsa_dx10_clamp 1
		.amdhsa_ieee_mode 1
		.amdhsa_fp16_overflow 0
		.amdhsa_exception_fp_ieee_invalid_op 0
		.amdhsa_exception_fp_denorm_src 0
		.amdhsa_exception_fp_ieee_div_zero 0
		.amdhsa_exception_fp_ieee_overflow 0
		.amdhsa_exception_fp_ieee_underflow 0
		.amdhsa_exception_fp_ieee_inexact 0
		.amdhsa_exception_int_div_zero 0
	.end_amdhsa_kernel
	.section	.text._ZN9rocsolver6v33100L11gemm_kernelIdiPKdPdS4_S4_EEvT0_S5_S5_T1_bT2_lS5_S5_lbT3_lS5_S5_lS6_T4_lS5_S5_l,"axG",@progbits,_ZN9rocsolver6v33100L11gemm_kernelIdiPKdPdS4_S4_EEvT0_S5_S5_T1_bT2_lS5_S5_lbT3_lS5_S5_lS6_T4_lS5_S5_l,comdat
.Lfunc_end2:
	.size	_ZN9rocsolver6v33100L11gemm_kernelIdiPKdPdS4_S4_EEvT0_S5_S5_T1_bT2_lS5_S5_lbT3_lS5_S5_lS6_T4_lS5_S5_l, .Lfunc_end2-_ZN9rocsolver6v33100L11gemm_kernelIdiPKdPdS4_S4_EEvT0_S5_S5_T1_bT2_lS5_S5_lbT3_lS5_S5_lS6_T4_lS5_S5_l
                                        ; -- End function
	.set _ZN9rocsolver6v33100L11gemm_kernelIdiPKdPdS4_S4_EEvT0_S5_S5_T1_bT2_lS5_S5_lbT3_lS5_S5_lS6_T4_lS5_S5_l.num_vgpr, 14
	.set _ZN9rocsolver6v33100L11gemm_kernelIdiPKdPdS4_S4_EEvT0_S5_S5_T1_bT2_lS5_S5_lbT3_lS5_S5_lS6_T4_lS5_S5_l.num_agpr, 0
	.set _ZN9rocsolver6v33100L11gemm_kernelIdiPKdPdS4_S4_EEvT0_S5_S5_T1_bT2_lS5_S5_lbT3_lS5_S5_lS6_T4_lS5_S5_l.numbered_sgpr, 32
	.set _ZN9rocsolver6v33100L11gemm_kernelIdiPKdPdS4_S4_EEvT0_S5_S5_T1_bT2_lS5_S5_lbT3_lS5_S5_lS6_T4_lS5_S5_l.num_named_barrier, 0
	.set _ZN9rocsolver6v33100L11gemm_kernelIdiPKdPdS4_S4_EEvT0_S5_S5_T1_bT2_lS5_S5_lbT3_lS5_S5_lS6_T4_lS5_S5_l.private_seg_size, 0
	.set _ZN9rocsolver6v33100L11gemm_kernelIdiPKdPdS4_S4_EEvT0_S5_S5_T1_bT2_lS5_S5_lbT3_lS5_S5_lS6_T4_lS5_S5_l.uses_vcc, 1
	.set _ZN9rocsolver6v33100L11gemm_kernelIdiPKdPdS4_S4_EEvT0_S5_S5_T1_bT2_lS5_S5_lbT3_lS5_S5_lS6_T4_lS5_S5_l.uses_flat_scratch, 0
	.set _ZN9rocsolver6v33100L11gemm_kernelIdiPKdPdS4_S4_EEvT0_S5_S5_T1_bT2_lS5_S5_lbT3_lS5_S5_lS6_T4_lS5_S5_l.has_dyn_sized_stack, 0
	.set _ZN9rocsolver6v33100L11gemm_kernelIdiPKdPdS4_S4_EEvT0_S5_S5_T1_bT2_lS5_S5_lbT3_lS5_S5_lS6_T4_lS5_S5_l.has_recursion, 0
	.set _ZN9rocsolver6v33100L11gemm_kernelIdiPKdPdS4_S4_EEvT0_S5_S5_T1_bT2_lS5_S5_lbT3_lS5_S5_lS6_T4_lS5_S5_l.has_indirect_call, 0
	.section	.AMDGPU.csdata,"",@progbits
; Kernel info:
; codeLenInByte = 556
; TotalNumSgprs: 36
; NumVgprs: 14
; ScratchSize: 0
; MemoryBound: 0
; FloatMode: 240
; IeeeMode: 1
; LDSByteSize: 0 bytes/workgroup (compile time only)
; SGPRBlocks: 4
; VGPRBlocks: 3
; NumSGPRsForWavesPerEU: 36
; NumVGPRsForWavesPerEU: 14
; Occupancy: 10
; WaveLimiterHint : 1
; COMPUTE_PGM_RSRC2:SCRATCH_EN: 0
; COMPUTE_PGM_RSRC2:USER_SGPR: 6
; COMPUTE_PGM_RSRC2:TRAP_HANDLER: 0
; COMPUTE_PGM_RSRC2:TGID_X_EN: 1
; COMPUTE_PGM_RSRC2:TGID_Y_EN: 1
; COMPUTE_PGM_RSRC2:TGID_Z_EN: 1
; COMPUTE_PGM_RSRC2:TIDIG_COMP_CNT: 1
	.section	.text._ZN9rocsolver6v33100L11gemm_kernelIdidPdS2_S2_EEvT0_S3_S3_T1_bT2_lS3_S3_lbT3_lS3_S3_lS4_T4_lS3_S3_l,"axG",@progbits,_ZN9rocsolver6v33100L11gemm_kernelIdidPdS2_S2_EEvT0_S3_S3_T1_bT2_lS3_S3_lbT3_lS3_S3_lS4_T4_lS3_S3_l,comdat
	.globl	_ZN9rocsolver6v33100L11gemm_kernelIdidPdS2_S2_EEvT0_S3_S3_T1_bT2_lS3_S3_lbT3_lS3_S3_lS4_T4_lS3_S3_l ; -- Begin function _ZN9rocsolver6v33100L11gemm_kernelIdidPdS2_S2_EEvT0_S3_S3_T1_bT2_lS3_S3_lbT3_lS3_S3_lS4_T4_lS3_S3_l
	.p2align	8
	.type	_ZN9rocsolver6v33100L11gemm_kernelIdidPdS2_S2_EEvT0_S3_S3_T1_bT2_lS3_S3_lbT3_lS3_S3_lS4_T4_lS3_S3_l,@function
_ZN9rocsolver6v33100L11gemm_kernelIdidPdS2_S2_EEvT0_S3_S3_T1_bT2_lS3_S3_lbT3_lS3_S3_lS4_T4_lS3_S3_l: ; @_ZN9rocsolver6v33100L11gemm_kernelIdidPdS2_S2_EEvT0_S3_S3_T1_bT2_lS3_S3_lbT3_lS3_S3_lS4_T4_lS3_S3_l
; %bb.0:
	s_load_dword s9, s[4:5], 0x9c
	s_load_dwordx4 s[0:3], s[4:5], 0x0
	s_waitcnt lgkmcnt(0)
	s_lshr_b32 s3, s9, 16
	s_and_b32 s9, s9, 0xffff
	s_mul_i32 s6, s6, s9
	s_mul_i32 s7, s7, s3
	v_add_u32_e32 v7, s6, v0
	v_add_u32_e32 v6, s7, v1
	v_cmp_gt_i32_e32 vcc, s0, v7
	v_cmp_gt_i32_e64 s[0:1], s1, v6
	s_and_b64 s[0:1], vcc, s[0:1]
	s_and_saveexec_b64 s[6:7], s[0:1]
	s_cbranch_execz .LBB3_6
; %bb.1:
	s_load_dwordx8 s[12:19], s[4:5], 0x60
	s_ashr_i32 s3, s8, 31
	s_cmp_lt_i32 s2, 1
	s_cbranch_scc1 .LBB3_4
; %bb.2:
	s_load_dwordx8 s[20:27], s[4:5], 0x20
	s_load_dwordx2 s[0:1], s[4:5], 0x58
	s_load_dwordx4 s[28:31], s[4:5], 0x48
	s_waitcnt lgkmcnt(0)
	s_mul_i32 s6, s12, s3
	v_mul_lo_u32 v0, v7, s24
	v_mul_lo_u32 v1, v6, s1
	s_mul_hi_u32 s1, s12, s8
	s_add_i32 s1, s1, s6
	s_mul_i32 s6, s13, s8
	s_add_i32 s7, s1, s6
	s_mul_i32 s6, s12, s8
	s_lshl_b64 s[6:7], s[6:7], 3
	s_lshl_b64 s[10:11], s[30:31], 3
	s_add_u32 s1, s6, s10
	s_addc_u32 s6, s7, s11
	s_add_u32 s1, s28, s1
	v_ashrrev_i32_e32 v2, 31, v1
	s_addc_u32 s6, s29, s6
	v_lshlrev_b64 v[2:3], 3, v[1:2]
	v_mov_b32_e32 v1, s6
	s_mul_i32 s6, s26, s3
	s_mul_hi_u32 s7, s26, s8
	s_add_i32 s6, s7, s6
	s_mul_i32 s7, s27, s8
	v_add_co_u32_e32 v2, vcc, s1, v2
	s_ashr_i32 s1, s0, 31
	s_add_i32 s7, s6, s7
	s_mul_i32 s6, s26, s8
	s_lshl_b64 s[0:1], s[0:1], 3
	s_lshl_b64 s[6:7], s[6:7], 3
	;; [unrolled: 1-line block ×3, first 2 shown]
	s_add_u32 s6, s6, s10
	v_addc_co_u32_e32 v3, vcc, v1, v3, vcc
	s_addc_u32 s7, s7, s11
	v_ashrrev_i32_e32 v1, 31, v0
	v_lshlrev_b64 v[0:1], 3, v[0:1]
	s_add_u32 s6, s20, s6
	s_addc_u32 s7, s21, s7
	v_mov_b32_e32 v5, s7
	v_add_co_u32_e32 v4, vcc, s6, v0
	s_ashr_i32 s7, s25, 31
	s_mov_b32 s6, s25
	v_addc_co_u32_e32 v5, vcc, v5, v1, vcc
	s_lshl_b64 s[6:7], s[6:7], 3
	v_mov_b32_e32 v0, 0
	v_mov_b32_e32 v1, 0
	;; [unrolled: 1-line block ×4, first 2 shown]
.LBB3_3:                                ; =>This Inner Loop Header: Depth=1
	global_load_dwordx2 v[10:11], v[4:5], off
	global_load_dwordx2 v[12:13], v[2:3], off
	v_add_co_u32_e32 v2, vcc, s0, v2
	v_addc_co_u32_e32 v3, vcc, v3, v8, vcc
	v_add_co_u32_e32 v4, vcc, s6, v4
	s_add_i32 s2, s2, -1
	s_cmp_eq_u32 s2, 0
	v_addc_co_u32_e32 v5, vcc, v5, v9, vcc
	s_waitcnt vmcnt(0)
	v_fma_f64 v[0:1], v[10:11], v[12:13], v[0:1]
	s_cbranch_scc0 .LBB3_3
	s_branch .LBB3_5
.LBB3_4:
	v_mov_b32_e32 v0, 0
	v_mov_b32_e32 v1, 0
.LBB3_5:
	s_load_dwordx4 s[20:23], s[4:5], 0x80
	s_waitcnt lgkmcnt(0)
	s_mul_i32 s1, s22, s3
	s_mul_hi_u32 s2, s22, s8
	s_mul_i32 s3, s23, s8
	v_mul_lo_u32 v2, v7, s20
	s_add_i32 s1, s2, s1
	s_mul_i32 s0, s22, s8
	s_add_i32 s1, s1, s3
	s_lshl_b64 s[0:1], s[0:1], 3
	s_add_u32 s2, s16, s0
	s_addc_u32 s3, s17, s1
	v_mad_u64_u32 v[2:3], s[0:1], v6, s21, v[2:3]
	s_lshl_b64 s[0:1], s[18:19], 3
	s_add_u32 s0, s2, s0
	v_ashrrev_i32_e32 v3, 31, v2
	v_lshlrev_b64 v[2:3], 3, v[2:3]
	s_addc_u32 s1, s3, s1
	v_mov_b32_e32 v4, s1
	v_add_co_u32_e32 v2, vcc, s0, v2
	v_addc_co_u32_e32 v3, vcc, v4, v3, vcc
	global_load_dwordx2 v[4:5], v[2:3], off
	s_load_dwordx2 s[0:1], s[4:5], 0x10
	s_waitcnt vmcnt(0)
	v_mul_f64 v[4:5], s[14:15], v[4:5]
	s_waitcnt lgkmcnt(0)
	v_fma_f64 v[0:1], s[0:1], v[0:1], v[4:5]
	global_store_dwordx2 v[2:3], v[0:1], off
.LBB3_6:
	s_endpgm
	.section	.rodata,"a",@progbits
	.p2align	6, 0x0
	.amdhsa_kernel _ZN9rocsolver6v33100L11gemm_kernelIdidPdS2_S2_EEvT0_S3_S3_T1_bT2_lS3_S3_lbT3_lS3_S3_lS4_T4_lS3_S3_l
		.amdhsa_group_segment_fixed_size 0
		.amdhsa_private_segment_fixed_size 0
		.amdhsa_kernarg_size 400
		.amdhsa_user_sgpr_count 6
		.amdhsa_user_sgpr_private_segment_buffer 1
		.amdhsa_user_sgpr_dispatch_ptr 0
		.amdhsa_user_sgpr_queue_ptr 0
		.amdhsa_user_sgpr_kernarg_segment_ptr 1
		.amdhsa_user_sgpr_dispatch_id 0
		.amdhsa_user_sgpr_flat_scratch_init 0
		.amdhsa_user_sgpr_private_segment_size 0
		.amdhsa_uses_dynamic_stack 0
		.amdhsa_system_sgpr_private_segment_wavefront_offset 0
		.amdhsa_system_sgpr_workgroup_id_x 1
		.amdhsa_system_sgpr_workgroup_id_y 1
		.amdhsa_system_sgpr_workgroup_id_z 1
		.amdhsa_system_sgpr_workgroup_info 0
		.amdhsa_system_vgpr_workitem_id 1
		.amdhsa_next_free_vgpr 14
		.amdhsa_next_free_sgpr 32
		.amdhsa_reserve_vcc 1
		.amdhsa_reserve_flat_scratch 0
		.amdhsa_float_round_mode_32 0
		.amdhsa_float_round_mode_16_64 0
		.amdhsa_float_denorm_mode_32 3
		.amdhsa_float_denorm_mode_16_64 3
		.amdhsa_dx10_clamp 1
		.amdhsa_ieee_mode 1
		.amdhsa_fp16_overflow 0
		.amdhsa_exception_fp_ieee_invalid_op 0
		.amdhsa_exception_fp_denorm_src 0
		.amdhsa_exception_fp_ieee_div_zero 0
		.amdhsa_exception_fp_ieee_overflow 0
		.amdhsa_exception_fp_ieee_underflow 0
		.amdhsa_exception_fp_ieee_inexact 0
		.amdhsa_exception_int_div_zero 0
	.end_amdhsa_kernel
	.section	.text._ZN9rocsolver6v33100L11gemm_kernelIdidPdS2_S2_EEvT0_S3_S3_T1_bT2_lS3_S3_lbT3_lS3_S3_lS4_T4_lS3_S3_l,"axG",@progbits,_ZN9rocsolver6v33100L11gemm_kernelIdidPdS2_S2_EEvT0_S3_S3_T1_bT2_lS3_S3_lbT3_lS3_S3_lS4_T4_lS3_S3_l,comdat
.Lfunc_end3:
	.size	_ZN9rocsolver6v33100L11gemm_kernelIdidPdS2_S2_EEvT0_S3_S3_T1_bT2_lS3_S3_lbT3_lS3_S3_lS4_T4_lS3_S3_l, .Lfunc_end3-_ZN9rocsolver6v33100L11gemm_kernelIdidPdS2_S2_EEvT0_S3_S3_T1_bT2_lS3_S3_lbT3_lS3_S3_lS4_T4_lS3_S3_l
                                        ; -- End function
	.set _ZN9rocsolver6v33100L11gemm_kernelIdidPdS2_S2_EEvT0_S3_S3_T1_bT2_lS3_S3_lbT3_lS3_S3_lS4_T4_lS3_S3_l.num_vgpr, 14
	.set _ZN9rocsolver6v33100L11gemm_kernelIdidPdS2_S2_EEvT0_S3_S3_T1_bT2_lS3_S3_lbT3_lS3_S3_lS4_T4_lS3_S3_l.num_agpr, 0
	.set _ZN9rocsolver6v33100L11gemm_kernelIdidPdS2_S2_EEvT0_S3_S3_T1_bT2_lS3_S3_lbT3_lS3_S3_lS4_T4_lS3_S3_l.numbered_sgpr, 32
	.set _ZN9rocsolver6v33100L11gemm_kernelIdidPdS2_S2_EEvT0_S3_S3_T1_bT2_lS3_S3_lbT3_lS3_S3_lS4_T4_lS3_S3_l.num_named_barrier, 0
	.set _ZN9rocsolver6v33100L11gemm_kernelIdidPdS2_S2_EEvT0_S3_S3_T1_bT2_lS3_S3_lbT3_lS3_S3_lS4_T4_lS3_S3_l.private_seg_size, 0
	.set _ZN9rocsolver6v33100L11gemm_kernelIdidPdS2_S2_EEvT0_S3_S3_T1_bT2_lS3_S3_lbT3_lS3_S3_lS4_T4_lS3_S3_l.uses_vcc, 1
	.set _ZN9rocsolver6v33100L11gemm_kernelIdidPdS2_S2_EEvT0_S3_S3_T1_bT2_lS3_S3_lbT3_lS3_S3_lS4_T4_lS3_S3_l.uses_flat_scratch, 0
	.set _ZN9rocsolver6v33100L11gemm_kernelIdidPdS2_S2_EEvT0_S3_S3_T1_bT2_lS3_S3_lbT3_lS3_S3_lS4_T4_lS3_S3_l.has_dyn_sized_stack, 0
	.set _ZN9rocsolver6v33100L11gemm_kernelIdidPdS2_S2_EEvT0_S3_S3_T1_bT2_lS3_S3_lbT3_lS3_S3_lS4_T4_lS3_S3_l.has_recursion, 0
	.set _ZN9rocsolver6v33100L11gemm_kernelIdidPdS2_S2_EEvT0_S3_S3_T1_bT2_lS3_S3_lbT3_lS3_S3_lS4_T4_lS3_S3_l.has_indirect_call, 0
	.section	.AMDGPU.csdata,"",@progbits
; Kernel info:
; codeLenInByte = 536
; TotalNumSgprs: 36
; NumVgprs: 14
; ScratchSize: 0
; MemoryBound: 0
; FloatMode: 240
; IeeeMode: 1
; LDSByteSize: 0 bytes/workgroup (compile time only)
; SGPRBlocks: 4
; VGPRBlocks: 3
; NumSGPRsForWavesPerEU: 36
; NumVGPRsForWavesPerEU: 14
; Occupancy: 10
; WaveLimiterHint : 1
; COMPUTE_PGM_RSRC2:SCRATCH_EN: 0
; COMPUTE_PGM_RSRC2:USER_SGPR: 6
; COMPUTE_PGM_RSRC2:TRAP_HANDLER: 0
; COMPUTE_PGM_RSRC2:TGID_X_EN: 1
; COMPUTE_PGM_RSRC2:TGID_Y_EN: 1
; COMPUTE_PGM_RSRC2:TGID_Z_EN: 1
; COMPUTE_PGM_RSRC2:TIDIG_COMP_CNT: 1
	.section	.text._ZN9rocsolver6v33100L16mfma_gemm_kernelIdiPKdPKPdS6_S6_EEv18rocblas_operation_S7_T0_S8_S8_T1_T2_lS8_S8_lT3_lS8_S8_lS9_T4_lS8_S8_l,"axG",@progbits,_ZN9rocsolver6v33100L16mfma_gemm_kernelIdiPKdPKPdS6_S6_EEv18rocblas_operation_S7_T0_S8_S8_T1_T2_lS8_S8_lT3_lS8_S8_lS9_T4_lS8_S8_l,comdat
	.globl	_ZN9rocsolver6v33100L16mfma_gemm_kernelIdiPKdPKPdS6_S6_EEv18rocblas_operation_S7_T0_S8_S8_T1_T2_lS8_S8_lT3_lS8_S8_lS9_T4_lS8_S8_l ; -- Begin function _ZN9rocsolver6v33100L16mfma_gemm_kernelIdiPKdPKPdS6_S6_EEv18rocblas_operation_S7_T0_S8_S8_T1_T2_lS8_S8_lT3_lS8_S8_lS9_T4_lS8_S8_l
	.p2align	8
	.type	_ZN9rocsolver6v33100L16mfma_gemm_kernelIdiPKdPKPdS6_S6_EEv18rocblas_operation_S7_T0_S8_S8_T1_T2_lS8_S8_lT3_lS8_S8_lS9_T4_lS8_S8_l,@function
_ZN9rocsolver6v33100L16mfma_gemm_kernelIdiPKdPKPdS6_S6_EEv18rocblas_operation_S7_T0_S8_S8_T1_T2_lS8_S8_lT3_lS8_S8_lS9_T4_lS8_S8_l: ; @_ZN9rocsolver6v33100L16mfma_gemm_kernelIdiPKdPKPdS6_S6_EEv18rocblas_operation_S7_T0_S8_S8_T1_T2_lS8_S8_lT3_lS8_S8_lS9_T4_lS8_S8_l
; %bb.0:
	s_endpgm
	.section	.rodata,"a",@progbits
	.p2align	6, 0x0
	.amdhsa_kernel _ZN9rocsolver6v33100L16mfma_gemm_kernelIdiPKdPKPdS6_S6_EEv18rocblas_operation_S7_T0_S8_S8_T1_T2_lS8_S8_lT3_lS8_S8_lS9_T4_lS8_S8_l
		.amdhsa_group_segment_fixed_size 0
		.amdhsa_private_segment_fixed_size 0
		.amdhsa_kernarg_size 136
		.amdhsa_user_sgpr_count 6
		.amdhsa_user_sgpr_private_segment_buffer 1
		.amdhsa_user_sgpr_dispatch_ptr 0
		.amdhsa_user_sgpr_queue_ptr 0
		.amdhsa_user_sgpr_kernarg_segment_ptr 1
		.amdhsa_user_sgpr_dispatch_id 0
		.amdhsa_user_sgpr_flat_scratch_init 0
		.amdhsa_user_sgpr_private_segment_size 0
		.amdhsa_uses_dynamic_stack 0
		.amdhsa_system_sgpr_private_segment_wavefront_offset 0
		.amdhsa_system_sgpr_workgroup_id_x 1
		.amdhsa_system_sgpr_workgroup_id_y 0
		.amdhsa_system_sgpr_workgroup_id_z 0
		.amdhsa_system_sgpr_workgroup_info 0
		.amdhsa_system_vgpr_workitem_id 0
		.amdhsa_next_free_vgpr 1
		.amdhsa_next_free_sgpr 0
		.amdhsa_reserve_vcc 0
		.amdhsa_reserve_flat_scratch 0
		.amdhsa_float_round_mode_32 0
		.amdhsa_float_round_mode_16_64 0
		.amdhsa_float_denorm_mode_32 3
		.amdhsa_float_denorm_mode_16_64 3
		.amdhsa_dx10_clamp 1
		.amdhsa_ieee_mode 1
		.amdhsa_fp16_overflow 0
		.amdhsa_exception_fp_ieee_invalid_op 0
		.amdhsa_exception_fp_denorm_src 0
		.amdhsa_exception_fp_ieee_div_zero 0
		.amdhsa_exception_fp_ieee_overflow 0
		.amdhsa_exception_fp_ieee_underflow 0
		.amdhsa_exception_fp_ieee_inexact 0
		.amdhsa_exception_int_div_zero 0
	.end_amdhsa_kernel
	.section	.text._ZN9rocsolver6v33100L16mfma_gemm_kernelIdiPKdPKPdS6_S6_EEv18rocblas_operation_S7_T0_S8_S8_T1_T2_lS8_S8_lT3_lS8_S8_lS9_T4_lS8_S8_l,"axG",@progbits,_ZN9rocsolver6v33100L16mfma_gemm_kernelIdiPKdPKPdS6_S6_EEv18rocblas_operation_S7_T0_S8_S8_T1_T2_lS8_S8_lT3_lS8_S8_lS9_T4_lS8_S8_l,comdat
.Lfunc_end4:
	.size	_ZN9rocsolver6v33100L16mfma_gemm_kernelIdiPKdPKPdS6_S6_EEv18rocblas_operation_S7_T0_S8_S8_T1_T2_lS8_S8_lT3_lS8_S8_lS9_T4_lS8_S8_l, .Lfunc_end4-_ZN9rocsolver6v33100L16mfma_gemm_kernelIdiPKdPKPdS6_S6_EEv18rocblas_operation_S7_T0_S8_S8_T1_T2_lS8_S8_lT3_lS8_S8_lS9_T4_lS8_S8_l
                                        ; -- End function
	.set _ZN9rocsolver6v33100L16mfma_gemm_kernelIdiPKdPKPdS6_S6_EEv18rocblas_operation_S7_T0_S8_S8_T1_T2_lS8_S8_lT3_lS8_S8_lS9_T4_lS8_S8_l.num_vgpr, 0
	.set _ZN9rocsolver6v33100L16mfma_gemm_kernelIdiPKdPKPdS6_S6_EEv18rocblas_operation_S7_T0_S8_S8_T1_T2_lS8_S8_lT3_lS8_S8_lS9_T4_lS8_S8_l.num_agpr, 0
	.set _ZN9rocsolver6v33100L16mfma_gemm_kernelIdiPKdPKPdS6_S6_EEv18rocblas_operation_S7_T0_S8_S8_T1_T2_lS8_S8_lT3_lS8_S8_lS9_T4_lS8_S8_l.numbered_sgpr, 0
	.set _ZN9rocsolver6v33100L16mfma_gemm_kernelIdiPKdPKPdS6_S6_EEv18rocblas_operation_S7_T0_S8_S8_T1_T2_lS8_S8_lT3_lS8_S8_lS9_T4_lS8_S8_l.num_named_barrier, 0
	.set _ZN9rocsolver6v33100L16mfma_gemm_kernelIdiPKdPKPdS6_S6_EEv18rocblas_operation_S7_T0_S8_S8_T1_T2_lS8_S8_lT3_lS8_S8_lS9_T4_lS8_S8_l.private_seg_size, 0
	.set _ZN9rocsolver6v33100L16mfma_gemm_kernelIdiPKdPKPdS6_S6_EEv18rocblas_operation_S7_T0_S8_S8_T1_T2_lS8_S8_lT3_lS8_S8_lS9_T4_lS8_S8_l.uses_vcc, 0
	.set _ZN9rocsolver6v33100L16mfma_gemm_kernelIdiPKdPKPdS6_S6_EEv18rocblas_operation_S7_T0_S8_S8_T1_T2_lS8_S8_lT3_lS8_S8_lS9_T4_lS8_S8_l.uses_flat_scratch, 0
	.set _ZN9rocsolver6v33100L16mfma_gemm_kernelIdiPKdPKPdS6_S6_EEv18rocblas_operation_S7_T0_S8_S8_T1_T2_lS8_S8_lT3_lS8_S8_lS9_T4_lS8_S8_l.has_dyn_sized_stack, 0
	.set _ZN9rocsolver6v33100L16mfma_gemm_kernelIdiPKdPKPdS6_S6_EEv18rocblas_operation_S7_T0_S8_S8_T1_T2_lS8_S8_lT3_lS8_S8_lS9_T4_lS8_S8_l.has_recursion, 0
	.set _ZN9rocsolver6v33100L16mfma_gemm_kernelIdiPKdPKPdS6_S6_EEv18rocblas_operation_S7_T0_S8_S8_T1_T2_lS8_S8_lT3_lS8_S8_lS9_T4_lS8_S8_l.has_indirect_call, 0
	.section	.AMDGPU.csdata,"",@progbits
; Kernel info:
; codeLenInByte = 4
; TotalNumSgprs: 4
; NumVgprs: 0
; ScratchSize: 0
; MemoryBound: 0
; FloatMode: 240
; IeeeMode: 1
; LDSByteSize: 0 bytes/workgroup (compile time only)
; SGPRBlocks: 0
; VGPRBlocks: 0
; NumSGPRsForWavesPerEU: 4
; NumVGPRsForWavesPerEU: 1
; Occupancy: 10
; WaveLimiterHint : 0
; COMPUTE_PGM_RSRC2:SCRATCH_EN: 0
; COMPUTE_PGM_RSRC2:USER_SGPR: 6
; COMPUTE_PGM_RSRC2:TRAP_HANDLER: 0
; COMPUTE_PGM_RSRC2:TGID_X_EN: 1
; COMPUTE_PGM_RSRC2:TGID_Y_EN: 0
; COMPUTE_PGM_RSRC2:TGID_Z_EN: 0
; COMPUTE_PGM_RSRC2:TIDIG_COMP_CNT: 0
	.section	.text._ZN9rocsolver6v33100L16mfma_gemm_kernelIdidPKPdS4_S4_EEv18rocblas_operation_S5_T0_S6_S6_T1_T2_lS6_S6_lT3_lS6_S6_lS7_T4_lS6_S6_l,"axG",@progbits,_ZN9rocsolver6v33100L16mfma_gemm_kernelIdidPKPdS4_S4_EEv18rocblas_operation_S5_T0_S6_S6_T1_T2_lS6_S6_lT3_lS6_S6_lS7_T4_lS6_S6_l,comdat
	.globl	_ZN9rocsolver6v33100L16mfma_gemm_kernelIdidPKPdS4_S4_EEv18rocblas_operation_S5_T0_S6_S6_T1_T2_lS6_S6_lT3_lS6_S6_lS7_T4_lS6_S6_l ; -- Begin function _ZN9rocsolver6v33100L16mfma_gemm_kernelIdidPKPdS4_S4_EEv18rocblas_operation_S5_T0_S6_S6_T1_T2_lS6_S6_lT3_lS6_S6_lS7_T4_lS6_S6_l
	.p2align	8
	.type	_ZN9rocsolver6v33100L16mfma_gemm_kernelIdidPKPdS4_S4_EEv18rocblas_operation_S5_T0_S6_S6_T1_T2_lS6_S6_lT3_lS6_S6_lS7_T4_lS6_S6_l,@function
_ZN9rocsolver6v33100L16mfma_gemm_kernelIdidPKPdS4_S4_EEv18rocblas_operation_S5_T0_S6_S6_T1_T2_lS6_S6_lT3_lS6_S6_lS7_T4_lS6_S6_l: ; @_ZN9rocsolver6v33100L16mfma_gemm_kernelIdidPKPdS4_S4_EEv18rocblas_operation_S5_T0_S6_S6_T1_T2_lS6_S6_lT3_lS6_S6_lS7_T4_lS6_S6_l
; %bb.0:
	s_endpgm
	.section	.rodata,"a",@progbits
	.p2align	6, 0x0
	.amdhsa_kernel _ZN9rocsolver6v33100L16mfma_gemm_kernelIdidPKPdS4_S4_EEv18rocblas_operation_S5_T0_S6_S6_T1_T2_lS6_S6_lT3_lS6_S6_lS7_T4_lS6_S6_l
		.amdhsa_group_segment_fixed_size 0
		.amdhsa_private_segment_fixed_size 0
		.amdhsa_kernarg_size 136
		.amdhsa_user_sgpr_count 6
		.amdhsa_user_sgpr_private_segment_buffer 1
		.amdhsa_user_sgpr_dispatch_ptr 0
		.amdhsa_user_sgpr_queue_ptr 0
		.amdhsa_user_sgpr_kernarg_segment_ptr 1
		.amdhsa_user_sgpr_dispatch_id 0
		.amdhsa_user_sgpr_flat_scratch_init 0
		.amdhsa_user_sgpr_private_segment_size 0
		.amdhsa_uses_dynamic_stack 0
		.amdhsa_system_sgpr_private_segment_wavefront_offset 0
		.amdhsa_system_sgpr_workgroup_id_x 1
		.amdhsa_system_sgpr_workgroup_id_y 0
		.amdhsa_system_sgpr_workgroup_id_z 0
		.amdhsa_system_sgpr_workgroup_info 0
		.amdhsa_system_vgpr_workitem_id 0
		.amdhsa_next_free_vgpr 1
		.amdhsa_next_free_sgpr 0
		.amdhsa_reserve_vcc 0
		.amdhsa_reserve_flat_scratch 0
		.amdhsa_float_round_mode_32 0
		.amdhsa_float_round_mode_16_64 0
		.amdhsa_float_denorm_mode_32 3
		.amdhsa_float_denorm_mode_16_64 3
		.amdhsa_dx10_clamp 1
		.amdhsa_ieee_mode 1
		.amdhsa_fp16_overflow 0
		.amdhsa_exception_fp_ieee_invalid_op 0
		.amdhsa_exception_fp_denorm_src 0
		.amdhsa_exception_fp_ieee_div_zero 0
		.amdhsa_exception_fp_ieee_overflow 0
		.amdhsa_exception_fp_ieee_underflow 0
		.amdhsa_exception_fp_ieee_inexact 0
		.amdhsa_exception_int_div_zero 0
	.end_amdhsa_kernel
	.section	.text._ZN9rocsolver6v33100L16mfma_gemm_kernelIdidPKPdS4_S4_EEv18rocblas_operation_S5_T0_S6_S6_T1_T2_lS6_S6_lT3_lS6_S6_lS7_T4_lS6_S6_l,"axG",@progbits,_ZN9rocsolver6v33100L16mfma_gemm_kernelIdidPKPdS4_S4_EEv18rocblas_operation_S5_T0_S6_S6_T1_T2_lS6_S6_lT3_lS6_S6_lS7_T4_lS6_S6_l,comdat
.Lfunc_end5:
	.size	_ZN9rocsolver6v33100L16mfma_gemm_kernelIdidPKPdS4_S4_EEv18rocblas_operation_S5_T0_S6_S6_T1_T2_lS6_S6_lT3_lS6_S6_lS7_T4_lS6_S6_l, .Lfunc_end5-_ZN9rocsolver6v33100L16mfma_gemm_kernelIdidPKPdS4_S4_EEv18rocblas_operation_S5_T0_S6_S6_T1_T2_lS6_S6_lT3_lS6_S6_lS7_T4_lS6_S6_l
                                        ; -- End function
	.set _ZN9rocsolver6v33100L16mfma_gemm_kernelIdidPKPdS4_S4_EEv18rocblas_operation_S5_T0_S6_S6_T1_T2_lS6_S6_lT3_lS6_S6_lS7_T4_lS6_S6_l.num_vgpr, 0
	.set _ZN9rocsolver6v33100L16mfma_gemm_kernelIdidPKPdS4_S4_EEv18rocblas_operation_S5_T0_S6_S6_T1_T2_lS6_S6_lT3_lS6_S6_lS7_T4_lS6_S6_l.num_agpr, 0
	.set _ZN9rocsolver6v33100L16mfma_gemm_kernelIdidPKPdS4_S4_EEv18rocblas_operation_S5_T0_S6_S6_T1_T2_lS6_S6_lT3_lS6_S6_lS7_T4_lS6_S6_l.numbered_sgpr, 0
	.set _ZN9rocsolver6v33100L16mfma_gemm_kernelIdidPKPdS4_S4_EEv18rocblas_operation_S5_T0_S6_S6_T1_T2_lS6_S6_lT3_lS6_S6_lS7_T4_lS6_S6_l.num_named_barrier, 0
	.set _ZN9rocsolver6v33100L16mfma_gemm_kernelIdidPKPdS4_S4_EEv18rocblas_operation_S5_T0_S6_S6_T1_T2_lS6_S6_lT3_lS6_S6_lS7_T4_lS6_S6_l.private_seg_size, 0
	.set _ZN9rocsolver6v33100L16mfma_gemm_kernelIdidPKPdS4_S4_EEv18rocblas_operation_S5_T0_S6_S6_T1_T2_lS6_S6_lT3_lS6_S6_lS7_T4_lS6_S6_l.uses_vcc, 0
	.set _ZN9rocsolver6v33100L16mfma_gemm_kernelIdidPKPdS4_S4_EEv18rocblas_operation_S5_T0_S6_S6_T1_T2_lS6_S6_lT3_lS6_S6_lS7_T4_lS6_S6_l.uses_flat_scratch, 0
	.set _ZN9rocsolver6v33100L16mfma_gemm_kernelIdidPKPdS4_S4_EEv18rocblas_operation_S5_T0_S6_S6_T1_T2_lS6_S6_lT3_lS6_S6_lS7_T4_lS6_S6_l.has_dyn_sized_stack, 0
	.set _ZN9rocsolver6v33100L16mfma_gemm_kernelIdidPKPdS4_S4_EEv18rocblas_operation_S5_T0_S6_S6_T1_T2_lS6_S6_lT3_lS6_S6_lS7_T4_lS6_S6_l.has_recursion, 0
	.set _ZN9rocsolver6v33100L16mfma_gemm_kernelIdidPKPdS4_S4_EEv18rocblas_operation_S5_T0_S6_S6_T1_T2_lS6_S6_lT3_lS6_S6_lS7_T4_lS6_S6_l.has_indirect_call, 0
	.section	.AMDGPU.csdata,"",@progbits
; Kernel info:
; codeLenInByte = 4
; TotalNumSgprs: 4
; NumVgprs: 0
; ScratchSize: 0
; MemoryBound: 0
; FloatMode: 240
; IeeeMode: 1
; LDSByteSize: 0 bytes/workgroup (compile time only)
; SGPRBlocks: 0
; VGPRBlocks: 0
; NumSGPRsForWavesPerEU: 4
; NumVGPRsForWavesPerEU: 1
; Occupancy: 10
; WaveLimiterHint : 0
; COMPUTE_PGM_RSRC2:SCRATCH_EN: 0
; COMPUTE_PGM_RSRC2:USER_SGPR: 6
; COMPUTE_PGM_RSRC2:TRAP_HANDLER: 0
; COMPUTE_PGM_RSRC2:TGID_X_EN: 1
; COMPUTE_PGM_RSRC2:TGID_Y_EN: 0
; COMPUTE_PGM_RSRC2:TGID_Z_EN: 0
; COMPUTE_PGM_RSRC2:TIDIG_COMP_CNT: 0
	.section	.text._ZN9rocsolver6v33100L11gemm_kernelIdiPKdPKPdS6_S6_EEvT0_S7_S7_T1_bT2_lS7_S7_lbT3_lS7_S7_lS8_T4_lS7_S7_l,"axG",@progbits,_ZN9rocsolver6v33100L11gemm_kernelIdiPKdPKPdS6_S6_EEvT0_S7_S7_T1_bT2_lS7_S7_lbT3_lS7_S7_lS8_T4_lS7_S7_l,comdat
	.globl	_ZN9rocsolver6v33100L11gemm_kernelIdiPKdPKPdS6_S6_EEvT0_S7_S7_T1_bT2_lS7_S7_lbT3_lS7_S7_lS8_T4_lS7_S7_l ; -- Begin function _ZN9rocsolver6v33100L11gemm_kernelIdiPKdPKPdS6_S6_EEvT0_S7_S7_T1_bT2_lS7_S7_lbT3_lS7_S7_lS8_T4_lS7_S7_l
	.p2align	8
	.type	_ZN9rocsolver6v33100L11gemm_kernelIdiPKdPKPdS6_S6_EEvT0_S7_S7_T1_bT2_lS7_S7_lbT3_lS7_S7_lS8_T4_lS7_S7_l,@function
_ZN9rocsolver6v33100L11gemm_kernelIdiPKdPKPdS6_S6_EEvT0_S7_S7_T1_bT2_lS7_S7_lbT3_lS7_S7_lS8_T4_lS7_S7_l: ; @_ZN9rocsolver6v33100L11gemm_kernelIdiPKdPKPdS6_S6_EEvT0_S7_S7_T1_bT2_lS7_S7_lbT3_lS7_S7_lS8_T4_lS7_S7_l
; %bb.0:
	s_load_dword s9, s[4:5], 0x9c
	s_load_dwordx4 s[0:3], s[4:5], 0x0
	s_waitcnt lgkmcnt(0)
	s_lshr_b32 s3, s9, 16
	s_and_b32 s9, s9, 0xffff
	s_mul_i32 s6, s6, s9
	s_mul_i32 s7, s7, s3
	v_add_u32_e32 v7, s6, v0
	v_add_u32_e32 v6, s7, v1
	v_cmp_gt_i32_e32 vcc, s0, v7
	v_cmp_gt_i32_e64 s[0:1], s1, v6
	s_and_b64 s[0:1], vcc, s[0:1]
	s_and_saveexec_b64 s[6:7], s[0:1]
	s_cbranch_execz .LBB6_6
; %bb.1:
	s_load_dwordx4 s[12:15], s[4:5], 0x68
	s_load_dwordx2 s[10:11], s[4:5], 0x10
	s_load_dwordx2 s[0:1], s[4:5], 0x78
	s_ashr_i32 s9, s8, 31
	s_lshl_b64 s[8:9], s[8:9], 3
	s_waitcnt lgkmcnt(0)
	s_add_u32 s6, s14, s8
	s_addc_u32 s7, s15, s9
	s_load_dwordx2 s[6:7], s[6:7], 0x0
	s_cmp_lt_i32 s2, 1
	s_cbranch_scc1 .LBB6_4
; %bb.2:
	s_load_dwordx4 s[16:19], s[4:5], 0x20
	s_load_dwordx2 s[14:15], s[4:5], 0x30
	s_load_dwordx4 s[20:23], s[4:5], 0x48
	s_load_dwordx2 s[24:25], s[4:5], 0x58
	s_waitcnt lgkmcnt(0)
	s_add_u32 s16, s16, s8
	s_addc_u32 s17, s17, s9
	s_add_u32 s8, s20, s8
	s_addc_u32 s9, s21, s9
	v_mul_lo_u32 v0, v6, s25
	s_load_dwordx2 s[8:9], s[8:9], 0x0
	v_mul_lo_u32 v4, v7, s14
	s_load_dwordx2 s[16:17], s[16:17], 0x0
	s_lshl_b64 s[20:21], s[22:23], 3
	v_ashrrev_i32_e32 v1, 31, v0
	v_lshlrev_b64 v[0:1], 3, v[0:1]
	s_waitcnt lgkmcnt(0)
	s_add_u32 s3, s8, s20
	s_addc_u32 s8, s9, s21
	s_ashr_i32 s25, s24, 31
	v_mov_b32_e32 v3, s8
	v_add_co_u32_e32 v2, vcc, s3, v0
	s_lshl_b64 s[8:9], s[24:25], 3
	s_lshl_b64 s[18:19], s[18:19], 3
	v_ashrrev_i32_e32 v5, 31, v4
	v_addc_co_u32_e32 v3, vcc, v3, v1, vcc
	v_lshlrev_b64 v[0:1], 3, v[4:5]
	s_add_u32 s3, s16, s18
	s_addc_u32 s14, s17, s19
	v_mov_b32_e32 v5, s14
	v_add_co_u32_e32 v4, vcc, s3, v0
	s_ashr_i32 s17, s15, 31
	s_mov_b32 s16, s15
	v_addc_co_u32_e32 v5, vcc, v5, v1, vcc
	s_lshl_b64 s[14:15], s[16:17], 3
	v_mov_b32_e32 v0, 0
	v_mov_b32_e32 v1, 0
	;; [unrolled: 1-line block ×4, first 2 shown]
.LBB6_3:                                ; =>This Inner Loop Header: Depth=1
	flat_load_dwordx2 v[10:11], v[4:5]
	flat_load_dwordx2 v[12:13], v[2:3]
	v_add_co_u32_e32 v2, vcc, s8, v2
	v_addc_co_u32_e32 v3, vcc, v3, v8, vcc
	v_add_co_u32_e32 v4, vcc, s14, v4
	s_add_i32 s2, s2, -1
	s_cmp_eq_u32 s2, 0
	v_addc_co_u32_e32 v5, vcc, v5, v9, vcc
	s_waitcnt vmcnt(0) lgkmcnt(0)
	v_fma_f64 v[0:1], v[10:11], v[12:13], v[0:1]
	s_cbranch_scc0 .LBB6_3
	s_branch .LBB6_5
.LBB6_4:
	v_mov_b32_e32 v0, 0
	v_mov_b32_e32 v1, 0
.LBB6_5:
	s_load_dwordx2 s[2:3], s[10:11], 0x0
	s_load_dwordx2 s[8:9], s[12:13], 0x0
                                        ; kill: killed $sgpr12_sgpr13
                                        ; kill: killed $sgpr10_sgpr11
	s_nop 0
	s_load_dwordx2 s[4:5], s[4:5], 0x80
	s_lshl_b64 s[0:1], s[0:1], 3
	s_waitcnt lgkmcnt(0)
	s_add_u32 s0, s6, s0
	s_addc_u32 s1, s7, s1
	v_mov_b32_e32 v4, s1
	v_mul_lo_u32 v2, v7, s4
	v_mad_u64_u32 v[2:3], s[4:5], v6, s5, v[2:3]
	v_ashrrev_i32_e32 v3, 31, v2
	v_lshlrev_b64 v[2:3], 3, v[2:3]
	v_add_co_u32_e32 v2, vcc, s0, v2
	v_addc_co_u32_e32 v3, vcc, v4, v3, vcc
	flat_load_dwordx2 v[4:5], v[2:3]
	s_waitcnt vmcnt(0) lgkmcnt(0)
	v_mul_f64 v[4:5], s[8:9], v[4:5]
	v_fma_f64 v[0:1], s[2:3], v[0:1], v[4:5]
	flat_store_dwordx2 v[2:3], v[0:1]
.LBB6_6:
	s_endpgm
	.section	.rodata,"a",@progbits
	.p2align	6, 0x0
	.amdhsa_kernel _ZN9rocsolver6v33100L11gemm_kernelIdiPKdPKPdS6_S6_EEvT0_S7_S7_T1_bT2_lS7_S7_lbT3_lS7_S7_lS8_T4_lS7_S7_l
		.amdhsa_group_segment_fixed_size 0
		.amdhsa_private_segment_fixed_size 0
		.amdhsa_kernarg_size 400
		.amdhsa_user_sgpr_count 6
		.amdhsa_user_sgpr_private_segment_buffer 1
		.amdhsa_user_sgpr_dispatch_ptr 0
		.amdhsa_user_sgpr_queue_ptr 0
		.amdhsa_user_sgpr_kernarg_segment_ptr 1
		.amdhsa_user_sgpr_dispatch_id 0
		.amdhsa_user_sgpr_flat_scratch_init 0
		.amdhsa_user_sgpr_private_segment_size 0
		.amdhsa_uses_dynamic_stack 0
		.amdhsa_system_sgpr_private_segment_wavefront_offset 0
		.amdhsa_system_sgpr_workgroup_id_x 1
		.amdhsa_system_sgpr_workgroup_id_y 1
		.amdhsa_system_sgpr_workgroup_id_z 1
		.amdhsa_system_sgpr_workgroup_info 0
		.amdhsa_system_vgpr_workitem_id 1
		.amdhsa_next_free_vgpr 14
		.amdhsa_next_free_sgpr 26
		.amdhsa_reserve_vcc 1
		.amdhsa_reserve_flat_scratch 0
		.amdhsa_float_round_mode_32 0
		.amdhsa_float_round_mode_16_64 0
		.amdhsa_float_denorm_mode_32 3
		.amdhsa_float_denorm_mode_16_64 3
		.amdhsa_dx10_clamp 1
		.amdhsa_ieee_mode 1
		.amdhsa_fp16_overflow 0
		.amdhsa_exception_fp_ieee_invalid_op 0
		.amdhsa_exception_fp_denorm_src 0
		.amdhsa_exception_fp_ieee_div_zero 0
		.amdhsa_exception_fp_ieee_overflow 0
		.amdhsa_exception_fp_ieee_underflow 0
		.amdhsa_exception_fp_ieee_inexact 0
		.amdhsa_exception_int_div_zero 0
	.end_amdhsa_kernel
	.section	.text._ZN9rocsolver6v33100L11gemm_kernelIdiPKdPKPdS6_S6_EEvT0_S7_S7_T1_bT2_lS7_S7_lbT3_lS7_S7_lS8_T4_lS7_S7_l,"axG",@progbits,_ZN9rocsolver6v33100L11gemm_kernelIdiPKdPKPdS6_S6_EEvT0_S7_S7_T1_bT2_lS7_S7_lbT3_lS7_S7_lS8_T4_lS7_S7_l,comdat
.Lfunc_end6:
	.size	_ZN9rocsolver6v33100L11gemm_kernelIdiPKdPKPdS6_S6_EEvT0_S7_S7_T1_bT2_lS7_S7_lbT3_lS7_S7_lS8_T4_lS7_S7_l, .Lfunc_end6-_ZN9rocsolver6v33100L11gemm_kernelIdiPKdPKPdS6_S6_EEvT0_S7_S7_T1_bT2_lS7_S7_lbT3_lS7_S7_lS8_T4_lS7_S7_l
                                        ; -- End function
	.set _ZN9rocsolver6v33100L11gemm_kernelIdiPKdPKPdS6_S6_EEvT0_S7_S7_T1_bT2_lS7_S7_lbT3_lS7_S7_lS8_T4_lS7_S7_l.num_vgpr, 14
	.set _ZN9rocsolver6v33100L11gemm_kernelIdiPKdPKPdS6_S6_EEvT0_S7_S7_T1_bT2_lS7_S7_lbT3_lS7_S7_lS8_T4_lS7_S7_l.num_agpr, 0
	.set _ZN9rocsolver6v33100L11gemm_kernelIdiPKdPKPdS6_S6_EEvT0_S7_S7_T1_bT2_lS7_S7_lbT3_lS7_S7_lS8_T4_lS7_S7_l.numbered_sgpr, 26
	.set _ZN9rocsolver6v33100L11gemm_kernelIdiPKdPKPdS6_S6_EEvT0_S7_S7_T1_bT2_lS7_S7_lbT3_lS7_S7_lS8_T4_lS7_S7_l.num_named_barrier, 0
	.set _ZN9rocsolver6v33100L11gemm_kernelIdiPKdPKPdS6_S6_EEvT0_S7_S7_T1_bT2_lS7_S7_lbT3_lS7_S7_lS8_T4_lS7_S7_l.private_seg_size, 0
	.set _ZN9rocsolver6v33100L11gemm_kernelIdiPKdPKPdS6_S6_EEvT0_S7_S7_T1_bT2_lS7_S7_lbT3_lS7_S7_lS8_T4_lS7_S7_l.uses_vcc, 1
	.set _ZN9rocsolver6v33100L11gemm_kernelIdiPKdPKPdS6_S6_EEvT0_S7_S7_T1_bT2_lS7_S7_lbT3_lS7_S7_lS8_T4_lS7_S7_l.uses_flat_scratch, 0
	.set _ZN9rocsolver6v33100L11gemm_kernelIdiPKdPKPdS6_S6_EEvT0_S7_S7_T1_bT2_lS7_S7_lbT3_lS7_S7_lS8_T4_lS7_S7_l.has_dyn_sized_stack, 0
	.set _ZN9rocsolver6v33100L11gemm_kernelIdiPKdPKPdS6_S6_EEvT0_S7_S7_T1_bT2_lS7_S7_lbT3_lS7_S7_lS8_T4_lS7_S7_l.has_recursion, 0
	.set _ZN9rocsolver6v33100L11gemm_kernelIdiPKdPKPdS6_S6_EEvT0_S7_S7_T1_bT2_lS7_S7_lbT3_lS7_S7_lS8_T4_lS7_S7_l.has_indirect_call, 0
	.section	.AMDGPU.csdata,"",@progbits
; Kernel info:
; codeLenInByte = 520
; TotalNumSgprs: 30
; NumVgprs: 14
; ScratchSize: 0
; MemoryBound: 0
; FloatMode: 240
; IeeeMode: 1
; LDSByteSize: 0 bytes/workgroup (compile time only)
; SGPRBlocks: 3
; VGPRBlocks: 3
; NumSGPRsForWavesPerEU: 30
; NumVGPRsForWavesPerEU: 14
; Occupancy: 10
; WaveLimiterHint : 1
; COMPUTE_PGM_RSRC2:SCRATCH_EN: 0
; COMPUTE_PGM_RSRC2:USER_SGPR: 6
; COMPUTE_PGM_RSRC2:TRAP_HANDLER: 0
; COMPUTE_PGM_RSRC2:TGID_X_EN: 1
; COMPUTE_PGM_RSRC2:TGID_Y_EN: 1
; COMPUTE_PGM_RSRC2:TGID_Z_EN: 1
; COMPUTE_PGM_RSRC2:TIDIG_COMP_CNT: 1
	.section	.text._ZN9rocsolver6v33100L11gemm_kernelIdidPKPdS4_S4_EEvT0_S5_S5_T1_bT2_lS5_S5_lbT3_lS5_S5_lS6_T4_lS5_S5_l,"axG",@progbits,_ZN9rocsolver6v33100L11gemm_kernelIdidPKPdS4_S4_EEvT0_S5_S5_T1_bT2_lS5_S5_lbT3_lS5_S5_lS6_T4_lS5_S5_l,comdat
	.globl	_ZN9rocsolver6v33100L11gemm_kernelIdidPKPdS4_S4_EEvT0_S5_S5_T1_bT2_lS5_S5_lbT3_lS5_S5_lS6_T4_lS5_S5_l ; -- Begin function _ZN9rocsolver6v33100L11gemm_kernelIdidPKPdS4_S4_EEvT0_S5_S5_T1_bT2_lS5_S5_lbT3_lS5_S5_lS6_T4_lS5_S5_l
	.p2align	8
	.type	_ZN9rocsolver6v33100L11gemm_kernelIdidPKPdS4_S4_EEvT0_S5_S5_T1_bT2_lS5_S5_lbT3_lS5_S5_lS6_T4_lS5_S5_l,@function
_ZN9rocsolver6v33100L11gemm_kernelIdidPKPdS4_S4_EEvT0_S5_S5_T1_bT2_lS5_S5_lbT3_lS5_S5_lS6_T4_lS5_S5_l: ; @_ZN9rocsolver6v33100L11gemm_kernelIdidPKPdS4_S4_EEvT0_S5_S5_T1_bT2_lS5_S5_lbT3_lS5_S5_lS6_T4_lS5_S5_l
; %bb.0:
	s_load_dword s0, s[4:5], 0x9c
	s_load_dwordx4 s[12:15], s[4:5], 0x0
	s_waitcnt lgkmcnt(0)
	s_lshr_b32 s1, s0, 16
	s_and_b32 s0, s0, 0xffff
	s_mul_i32 s6, s6, s0
	s_mul_i32 s7, s7, s1
	v_add_u32_e32 v7, s6, v0
	v_add_u32_e32 v6, s7, v1
	v_cmp_gt_i32_e32 vcc, s12, v7
	v_cmp_gt_i32_e64 s[0:1], s13, v6
	s_and_b64 s[0:1], vcc, s[0:1]
	s_and_saveexec_b64 s[2:3], s[0:1]
	s_cbranch_execz .LBB7_6
; %bb.1:
	s_load_dwordx4 s[0:3], s[4:5], 0x68
	s_load_dwordx2 s[6:7], s[4:5], 0x78
	s_ashr_i32 s9, s8, 31
	s_lshl_b64 s[8:9], s[8:9], 3
	s_waitcnt lgkmcnt(0)
	s_add_u32 s2, s2, s8
	s_addc_u32 s3, s3, s9
	s_load_dwordx2 s[2:3], s[2:3], 0x0
	s_cmp_lt_i32 s14, 1
	s_cbranch_scc1 .LBB7_4
; %bb.2:
	s_load_dwordx4 s[16:19], s[4:5], 0x20
	s_load_dwordx2 s[10:11], s[4:5], 0x30
	s_load_dwordx4 s[20:23], s[4:5], 0x48
	s_load_dwordx2 s[12:13], s[4:5], 0x58
	s_waitcnt lgkmcnt(0)
	s_add_u32 s16, s16, s8
	s_addc_u32 s17, s17, s9
	s_add_u32 s8, s20, s8
	s_addc_u32 s9, s21, s9
	v_mul_lo_u32 v0, v6, s13
	s_load_dwordx2 s[8:9], s[8:9], 0x0
	v_mul_lo_u32 v4, v7, s10
	s_load_dwordx2 s[16:17], s[16:17], 0x0
	s_lshl_b64 s[20:21], s[22:23], 3
	v_ashrrev_i32_e32 v1, 31, v0
	v_lshlrev_b64 v[0:1], 3, v[0:1]
	s_waitcnt lgkmcnt(0)
	s_add_u32 s8, s8, s20
	s_addc_u32 s9, s9, s21
	s_ashr_i32 s13, s12, 31
	v_mov_b32_e32 v3, s9
	v_add_co_u32_e32 v2, vcc, s8, v0
	s_lshl_b64 s[8:9], s[12:13], 3
	s_lshl_b64 s[12:13], s[18:19], 3
	v_ashrrev_i32_e32 v5, 31, v4
	v_addc_co_u32_e32 v3, vcc, v3, v1, vcc
	v_lshlrev_b64 v[0:1], 3, v[4:5]
	s_add_u32 s10, s16, s12
	s_addc_u32 s12, s17, s13
	v_mov_b32_e32 v5, s12
	v_add_co_u32_e32 v4, vcc, s10, v0
	s_ashr_i32 s13, s11, 31
	s_mov_b32 s12, s11
	v_addc_co_u32_e32 v5, vcc, v5, v1, vcc
	s_lshl_b64 s[10:11], s[12:13], 3
	v_mov_b32_e32 v0, 0
	v_mov_b32_e32 v1, 0
	;; [unrolled: 1-line block ×4, first 2 shown]
.LBB7_3:                                ; =>This Inner Loop Header: Depth=1
	flat_load_dwordx2 v[10:11], v[4:5]
	flat_load_dwordx2 v[12:13], v[2:3]
	v_add_co_u32_e32 v2, vcc, s8, v2
	v_addc_co_u32_e32 v3, vcc, v3, v8, vcc
	v_add_co_u32_e32 v4, vcc, s10, v4
	s_add_i32 s14, s14, -1
	s_cmp_eq_u32 s14, 0
	v_addc_co_u32_e32 v5, vcc, v5, v9, vcc
	s_waitcnt vmcnt(0) lgkmcnt(0)
	v_fma_f64 v[0:1], v[10:11], v[12:13], v[0:1]
	s_cbranch_scc0 .LBB7_3
	s_branch .LBB7_5
.LBB7_4:
	v_mov_b32_e32 v0, 0
	v_mov_b32_e32 v1, 0
.LBB7_5:
	s_load_dwordx2 s[8:9], s[4:5], 0x80
	s_lshl_b64 s[6:7], s[6:7], 3
	s_waitcnt lgkmcnt(0)
	s_add_u32 s2, s2, s6
	s_addc_u32 s3, s3, s7
	v_mov_b32_e32 v4, s3
	v_mul_lo_u32 v2, v7, s8
	v_mad_u64_u32 v[2:3], s[8:9], v6, s9, v[2:3]
	v_ashrrev_i32_e32 v3, 31, v2
	v_lshlrev_b64 v[2:3], 3, v[2:3]
	v_add_co_u32_e32 v2, vcc, s2, v2
	v_addc_co_u32_e32 v3, vcc, v4, v3, vcc
	flat_load_dwordx2 v[4:5], v[2:3]
	s_waitcnt vmcnt(0) lgkmcnt(0)
	v_mul_f64 v[4:5], s[0:1], v[4:5]
	s_load_dwordx2 s[0:1], s[4:5], 0x10
	s_waitcnt lgkmcnt(0)
	v_fma_f64 v[0:1], s[0:1], v[0:1], v[4:5]
	flat_store_dwordx2 v[2:3], v[0:1]
.LBB7_6:
	s_endpgm
	.section	.rodata,"a",@progbits
	.p2align	6, 0x0
	.amdhsa_kernel _ZN9rocsolver6v33100L11gemm_kernelIdidPKPdS4_S4_EEvT0_S5_S5_T1_bT2_lS5_S5_lbT3_lS5_S5_lS6_T4_lS5_S5_l
		.amdhsa_group_segment_fixed_size 0
		.amdhsa_private_segment_fixed_size 0
		.amdhsa_kernarg_size 400
		.amdhsa_user_sgpr_count 6
		.amdhsa_user_sgpr_private_segment_buffer 1
		.amdhsa_user_sgpr_dispatch_ptr 0
		.amdhsa_user_sgpr_queue_ptr 0
		.amdhsa_user_sgpr_kernarg_segment_ptr 1
		.amdhsa_user_sgpr_dispatch_id 0
		.amdhsa_user_sgpr_flat_scratch_init 0
		.amdhsa_user_sgpr_private_segment_size 0
		.amdhsa_uses_dynamic_stack 0
		.amdhsa_system_sgpr_private_segment_wavefront_offset 0
		.amdhsa_system_sgpr_workgroup_id_x 1
		.amdhsa_system_sgpr_workgroup_id_y 1
		.amdhsa_system_sgpr_workgroup_id_z 1
		.amdhsa_system_sgpr_workgroup_info 0
		.amdhsa_system_vgpr_workitem_id 1
		.amdhsa_next_free_vgpr 14
		.amdhsa_next_free_sgpr 24
		.amdhsa_reserve_vcc 1
		.amdhsa_reserve_flat_scratch 0
		.amdhsa_float_round_mode_32 0
		.amdhsa_float_round_mode_16_64 0
		.amdhsa_float_denorm_mode_32 3
		.amdhsa_float_denorm_mode_16_64 3
		.amdhsa_dx10_clamp 1
		.amdhsa_ieee_mode 1
		.amdhsa_fp16_overflow 0
		.amdhsa_exception_fp_ieee_invalid_op 0
		.amdhsa_exception_fp_denorm_src 0
		.amdhsa_exception_fp_ieee_div_zero 0
		.amdhsa_exception_fp_ieee_overflow 0
		.amdhsa_exception_fp_ieee_underflow 0
		.amdhsa_exception_fp_ieee_inexact 0
		.amdhsa_exception_int_div_zero 0
	.end_amdhsa_kernel
	.section	.text._ZN9rocsolver6v33100L11gemm_kernelIdidPKPdS4_S4_EEvT0_S5_S5_T1_bT2_lS5_S5_lbT3_lS5_S5_lS6_T4_lS5_S5_l,"axG",@progbits,_ZN9rocsolver6v33100L11gemm_kernelIdidPKPdS4_S4_EEvT0_S5_S5_T1_bT2_lS5_S5_lbT3_lS5_S5_lS6_T4_lS5_S5_l,comdat
.Lfunc_end7:
	.size	_ZN9rocsolver6v33100L11gemm_kernelIdidPKPdS4_S4_EEvT0_S5_S5_T1_bT2_lS5_S5_lbT3_lS5_S5_lS6_T4_lS5_S5_l, .Lfunc_end7-_ZN9rocsolver6v33100L11gemm_kernelIdidPKPdS4_S4_EEvT0_S5_S5_T1_bT2_lS5_S5_lbT3_lS5_S5_lS6_T4_lS5_S5_l
                                        ; -- End function
	.set _ZN9rocsolver6v33100L11gemm_kernelIdidPKPdS4_S4_EEvT0_S5_S5_T1_bT2_lS5_S5_lbT3_lS5_S5_lS6_T4_lS5_S5_l.num_vgpr, 14
	.set _ZN9rocsolver6v33100L11gemm_kernelIdidPKPdS4_S4_EEvT0_S5_S5_T1_bT2_lS5_S5_lbT3_lS5_S5_lS6_T4_lS5_S5_l.num_agpr, 0
	.set _ZN9rocsolver6v33100L11gemm_kernelIdidPKPdS4_S4_EEvT0_S5_S5_T1_bT2_lS5_S5_lbT3_lS5_S5_lS6_T4_lS5_S5_l.numbered_sgpr, 24
	.set _ZN9rocsolver6v33100L11gemm_kernelIdidPKPdS4_S4_EEvT0_S5_S5_T1_bT2_lS5_S5_lbT3_lS5_S5_lS6_T4_lS5_S5_l.num_named_barrier, 0
	.set _ZN9rocsolver6v33100L11gemm_kernelIdidPKPdS4_S4_EEvT0_S5_S5_T1_bT2_lS5_S5_lbT3_lS5_S5_lS6_T4_lS5_S5_l.private_seg_size, 0
	.set _ZN9rocsolver6v33100L11gemm_kernelIdidPKPdS4_S4_EEvT0_S5_S5_T1_bT2_lS5_S5_lbT3_lS5_S5_lS6_T4_lS5_S5_l.uses_vcc, 1
	.set _ZN9rocsolver6v33100L11gemm_kernelIdidPKPdS4_S4_EEvT0_S5_S5_T1_bT2_lS5_S5_lbT3_lS5_S5_lS6_T4_lS5_S5_l.uses_flat_scratch, 0
	.set _ZN9rocsolver6v33100L11gemm_kernelIdidPKPdS4_S4_EEvT0_S5_S5_T1_bT2_lS5_S5_lbT3_lS5_S5_lS6_T4_lS5_S5_l.has_dyn_sized_stack, 0
	.set _ZN9rocsolver6v33100L11gemm_kernelIdidPKPdS4_S4_EEvT0_S5_S5_T1_bT2_lS5_S5_lbT3_lS5_S5_lS6_T4_lS5_S5_l.has_recursion, 0
	.set _ZN9rocsolver6v33100L11gemm_kernelIdidPKPdS4_S4_EEvT0_S5_S5_T1_bT2_lS5_S5_lbT3_lS5_S5_lS6_T4_lS5_S5_l.has_indirect_call, 0
	.section	.AMDGPU.csdata,"",@progbits
; Kernel info:
; codeLenInByte = 504
; TotalNumSgprs: 28
; NumVgprs: 14
; ScratchSize: 0
; MemoryBound: 0
; FloatMode: 240
; IeeeMode: 1
; LDSByteSize: 0 bytes/workgroup (compile time only)
; SGPRBlocks: 3
; VGPRBlocks: 3
; NumSGPRsForWavesPerEU: 28
; NumVGPRsForWavesPerEU: 14
; Occupancy: 10
; WaveLimiterHint : 1
; COMPUTE_PGM_RSRC2:SCRATCH_EN: 0
; COMPUTE_PGM_RSRC2:USER_SGPR: 6
; COMPUTE_PGM_RSRC2:TRAP_HANDLER: 0
; COMPUTE_PGM_RSRC2:TGID_X_EN: 1
; COMPUTE_PGM_RSRC2:TGID_Y_EN: 1
; COMPUTE_PGM_RSRC2:TGID_Z_EN: 1
; COMPUTE_PGM_RSRC2:TIDIG_COMP_CNT: 1
	.section	.text._ZN9rocsolver6v33100L9get_arrayIdiEEvPPT_S3_lT0_,"axG",@progbits,_ZN9rocsolver6v33100L9get_arrayIdiEEvPPT_S3_lT0_,comdat
	.globl	_ZN9rocsolver6v33100L9get_arrayIdiEEvPPT_S3_lT0_ ; -- Begin function _ZN9rocsolver6v33100L9get_arrayIdiEEvPPT_S3_lT0_
	.p2align	8
	.type	_ZN9rocsolver6v33100L9get_arrayIdiEEvPPT_S3_lT0_,@function
_ZN9rocsolver6v33100L9get_arrayIdiEEvPPT_S3_lT0_: ; @_ZN9rocsolver6v33100L9get_arrayIdiEEvPPT_S3_lT0_
; %bb.0:
	s_load_dword s0, s[4:5], 0x2c
	s_load_dword s1, s[4:5], 0x18
	s_waitcnt lgkmcnt(0)
	s_and_b32 s0, s0, 0xffff
	s_mul_i32 s6, s6, s0
	v_add_u32_e32 v0, s6, v0
	v_cmp_gt_i32_e32 vcc, s1, v0
	s_and_saveexec_b64 s[0:1], vcc
	s_cbranch_execz .LBB8_2
; %bb.1:
	s_load_dwordx2 s[6:7], s[4:5], 0x10
	s_load_dwordx4 s[0:3], s[4:5], 0x0
	v_ashrrev_i32_e32 v1, 31, v0
	s_waitcnt lgkmcnt(0)
	v_mul_lo_u32 v4, s7, v0
	v_mul_lo_u32 v5, s6, v1
	v_mad_u64_u32 v[2:3], s[4:5], s6, v0, 0
	v_mov_b32_e32 v6, s3
	v_lshlrev_b64 v[0:1], 3, v[0:1]
	v_add3_u32 v3, v3, v5, v4
	v_lshlrev_b64 v[2:3], 3, v[2:3]
	v_mov_b32_e32 v4, s1
	v_add_co_u32_e32 v2, vcc, s2, v2
	v_addc_co_u32_e32 v3, vcc, v6, v3, vcc
	v_add_co_u32_e32 v0, vcc, s0, v0
	v_addc_co_u32_e32 v1, vcc, v4, v1, vcc
	global_store_dwordx2 v[0:1], v[2:3], off
.LBB8_2:
	s_endpgm
	.section	.rodata,"a",@progbits
	.p2align	6, 0x0
	.amdhsa_kernel _ZN9rocsolver6v33100L9get_arrayIdiEEvPPT_S3_lT0_
		.amdhsa_group_segment_fixed_size 0
		.amdhsa_private_segment_fixed_size 0
		.amdhsa_kernarg_size 288
		.amdhsa_user_sgpr_count 6
		.amdhsa_user_sgpr_private_segment_buffer 1
		.amdhsa_user_sgpr_dispatch_ptr 0
		.amdhsa_user_sgpr_queue_ptr 0
		.amdhsa_user_sgpr_kernarg_segment_ptr 1
		.amdhsa_user_sgpr_dispatch_id 0
		.amdhsa_user_sgpr_flat_scratch_init 0
		.amdhsa_user_sgpr_private_segment_size 0
		.amdhsa_uses_dynamic_stack 0
		.amdhsa_system_sgpr_private_segment_wavefront_offset 0
		.amdhsa_system_sgpr_workgroup_id_x 1
		.amdhsa_system_sgpr_workgroup_id_y 0
		.amdhsa_system_sgpr_workgroup_id_z 0
		.amdhsa_system_sgpr_workgroup_info 0
		.amdhsa_system_vgpr_workitem_id 0
		.amdhsa_next_free_vgpr 7
		.amdhsa_next_free_sgpr 8
		.amdhsa_reserve_vcc 1
		.amdhsa_reserve_flat_scratch 0
		.amdhsa_float_round_mode_32 0
		.amdhsa_float_round_mode_16_64 0
		.amdhsa_float_denorm_mode_32 3
		.amdhsa_float_denorm_mode_16_64 3
		.amdhsa_dx10_clamp 1
		.amdhsa_ieee_mode 1
		.amdhsa_fp16_overflow 0
		.amdhsa_exception_fp_ieee_invalid_op 0
		.amdhsa_exception_fp_denorm_src 0
		.amdhsa_exception_fp_ieee_div_zero 0
		.amdhsa_exception_fp_ieee_overflow 0
		.amdhsa_exception_fp_ieee_underflow 0
		.amdhsa_exception_fp_ieee_inexact 0
		.amdhsa_exception_int_div_zero 0
	.end_amdhsa_kernel
	.section	.text._ZN9rocsolver6v33100L9get_arrayIdiEEvPPT_S3_lT0_,"axG",@progbits,_ZN9rocsolver6v33100L9get_arrayIdiEEvPPT_S3_lT0_,comdat
.Lfunc_end8:
	.size	_ZN9rocsolver6v33100L9get_arrayIdiEEvPPT_S3_lT0_, .Lfunc_end8-_ZN9rocsolver6v33100L9get_arrayIdiEEvPPT_S3_lT0_
                                        ; -- End function
	.set _ZN9rocsolver6v33100L9get_arrayIdiEEvPPT_S3_lT0_.num_vgpr, 7
	.set _ZN9rocsolver6v33100L9get_arrayIdiEEvPPT_S3_lT0_.num_agpr, 0
	.set _ZN9rocsolver6v33100L9get_arrayIdiEEvPPT_S3_lT0_.numbered_sgpr, 8
	.set _ZN9rocsolver6v33100L9get_arrayIdiEEvPPT_S3_lT0_.num_named_barrier, 0
	.set _ZN9rocsolver6v33100L9get_arrayIdiEEvPPT_S3_lT0_.private_seg_size, 0
	.set _ZN9rocsolver6v33100L9get_arrayIdiEEvPPT_S3_lT0_.uses_vcc, 1
	.set _ZN9rocsolver6v33100L9get_arrayIdiEEvPPT_S3_lT0_.uses_flat_scratch, 0
	.set _ZN9rocsolver6v33100L9get_arrayIdiEEvPPT_S3_lT0_.has_dyn_sized_stack, 0
	.set _ZN9rocsolver6v33100L9get_arrayIdiEEvPPT_S3_lT0_.has_recursion, 0
	.set _ZN9rocsolver6v33100L9get_arrayIdiEEvPPT_S3_lT0_.has_indirect_call, 0
	.section	.AMDGPU.csdata,"",@progbits
; Kernel info:
; codeLenInByte = 156
; TotalNumSgprs: 12
; NumVgprs: 7
; ScratchSize: 0
; MemoryBound: 0
; FloatMode: 240
; IeeeMode: 1
; LDSByteSize: 0 bytes/workgroup (compile time only)
; SGPRBlocks: 1
; VGPRBlocks: 1
; NumSGPRsForWavesPerEU: 12
; NumVGPRsForWavesPerEU: 7
; Occupancy: 10
; WaveLimiterHint : 0
; COMPUTE_PGM_RSRC2:SCRATCH_EN: 0
; COMPUTE_PGM_RSRC2:USER_SGPR: 6
; COMPUTE_PGM_RSRC2:TRAP_HANDLER: 0
; COMPUTE_PGM_RSRC2:TGID_X_EN: 1
; COMPUTE_PGM_RSRC2:TGID_Y_EN: 0
; COMPUTE_PGM_RSRC2:TGID_Z_EN: 0
; COMPUTE_PGM_RSRC2:TIDIG_COMP_CNT: 0
	.section	.text._ZN9rocsolver6v33100L16mfma_gemm_kernelIdiPKdPdPKS4_S6_EEv18rocblas_operation_S7_T0_S8_S8_T1_T2_lS8_S8_lT3_lS8_S8_lS9_T4_lS8_S8_l,"axG",@progbits,_ZN9rocsolver6v33100L16mfma_gemm_kernelIdiPKdPdPKS4_S6_EEv18rocblas_operation_S7_T0_S8_S8_T1_T2_lS8_S8_lT3_lS8_S8_lS9_T4_lS8_S8_l,comdat
	.globl	_ZN9rocsolver6v33100L16mfma_gemm_kernelIdiPKdPdPKS4_S6_EEv18rocblas_operation_S7_T0_S8_S8_T1_T2_lS8_S8_lT3_lS8_S8_lS9_T4_lS8_S8_l ; -- Begin function _ZN9rocsolver6v33100L16mfma_gemm_kernelIdiPKdPdPKS4_S6_EEv18rocblas_operation_S7_T0_S8_S8_T1_T2_lS8_S8_lT3_lS8_S8_lS9_T4_lS8_S8_l
	.p2align	8
	.type	_ZN9rocsolver6v33100L16mfma_gemm_kernelIdiPKdPdPKS4_S6_EEv18rocblas_operation_S7_T0_S8_S8_T1_T2_lS8_S8_lT3_lS8_S8_lS9_T4_lS8_S8_l,@function
_ZN9rocsolver6v33100L16mfma_gemm_kernelIdiPKdPdPKS4_S6_EEv18rocblas_operation_S7_T0_S8_S8_T1_T2_lS8_S8_lT3_lS8_S8_lS9_T4_lS8_S8_l: ; @_ZN9rocsolver6v33100L16mfma_gemm_kernelIdiPKdPdPKS4_S6_EEv18rocblas_operation_S7_T0_S8_S8_T1_T2_lS8_S8_lT3_lS8_S8_lS9_T4_lS8_S8_l
; %bb.0:
	s_endpgm
	.section	.rodata,"a",@progbits
	.p2align	6, 0x0
	.amdhsa_kernel _ZN9rocsolver6v33100L16mfma_gemm_kernelIdiPKdPdPKS4_S6_EEv18rocblas_operation_S7_T0_S8_S8_T1_T2_lS8_S8_lT3_lS8_S8_lS9_T4_lS8_S8_l
		.amdhsa_group_segment_fixed_size 0
		.amdhsa_private_segment_fixed_size 0
		.amdhsa_kernarg_size 136
		.amdhsa_user_sgpr_count 6
		.amdhsa_user_sgpr_private_segment_buffer 1
		.amdhsa_user_sgpr_dispatch_ptr 0
		.amdhsa_user_sgpr_queue_ptr 0
		.amdhsa_user_sgpr_kernarg_segment_ptr 1
		.amdhsa_user_sgpr_dispatch_id 0
		.amdhsa_user_sgpr_flat_scratch_init 0
		.amdhsa_user_sgpr_private_segment_size 0
		.amdhsa_uses_dynamic_stack 0
		.amdhsa_system_sgpr_private_segment_wavefront_offset 0
		.amdhsa_system_sgpr_workgroup_id_x 1
		.amdhsa_system_sgpr_workgroup_id_y 0
		.amdhsa_system_sgpr_workgroup_id_z 0
		.amdhsa_system_sgpr_workgroup_info 0
		.amdhsa_system_vgpr_workitem_id 0
		.amdhsa_next_free_vgpr 1
		.amdhsa_next_free_sgpr 0
		.amdhsa_reserve_vcc 0
		.amdhsa_reserve_flat_scratch 0
		.amdhsa_float_round_mode_32 0
		.amdhsa_float_round_mode_16_64 0
		.amdhsa_float_denorm_mode_32 3
		.amdhsa_float_denorm_mode_16_64 3
		.amdhsa_dx10_clamp 1
		.amdhsa_ieee_mode 1
		.amdhsa_fp16_overflow 0
		.amdhsa_exception_fp_ieee_invalid_op 0
		.amdhsa_exception_fp_denorm_src 0
		.amdhsa_exception_fp_ieee_div_zero 0
		.amdhsa_exception_fp_ieee_overflow 0
		.amdhsa_exception_fp_ieee_underflow 0
		.amdhsa_exception_fp_ieee_inexact 0
		.amdhsa_exception_int_div_zero 0
	.end_amdhsa_kernel
	.section	.text._ZN9rocsolver6v33100L16mfma_gemm_kernelIdiPKdPdPKS4_S6_EEv18rocblas_operation_S7_T0_S8_S8_T1_T2_lS8_S8_lT3_lS8_S8_lS9_T4_lS8_S8_l,"axG",@progbits,_ZN9rocsolver6v33100L16mfma_gemm_kernelIdiPKdPdPKS4_S6_EEv18rocblas_operation_S7_T0_S8_S8_T1_T2_lS8_S8_lT3_lS8_S8_lS9_T4_lS8_S8_l,comdat
.Lfunc_end9:
	.size	_ZN9rocsolver6v33100L16mfma_gemm_kernelIdiPKdPdPKS4_S6_EEv18rocblas_operation_S7_T0_S8_S8_T1_T2_lS8_S8_lT3_lS8_S8_lS9_T4_lS8_S8_l, .Lfunc_end9-_ZN9rocsolver6v33100L16mfma_gemm_kernelIdiPKdPdPKS4_S6_EEv18rocblas_operation_S7_T0_S8_S8_T1_T2_lS8_S8_lT3_lS8_S8_lS9_T4_lS8_S8_l
                                        ; -- End function
	.set _ZN9rocsolver6v33100L16mfma_gemm_kernelIdiPKdPdPKS4_S6_EEv18rocblas_operation_S7_T0_S8_S8_T1_T2_lS8_S8_lT3_lS8_S8_lS9_T4_lS8_S8_l.num_vgpr, 0
	.set _ZN9rocsolver6v33100L16mfma_gemm_kernelIdiPKdPdPKS4_S6_EEv18rocblas_operation_S7_T0_S8_S8_T1_T2_lS8_S8_lT3_lS8_S8_lS9_T4_lS8_S8_l.num_agpr, 0
	.set _ZN9rocsolver6v33100L16mfma_gemm_kernelIdiPKdPdPKS4_S6_EEv18rocblas_operation_S7_T0_S8_S8_T1_T2_lS8_S8_lT3_lS8_S8_lS9_T4_lS8_S8_l.numbered_sgpr, 0
	.set _ZN9rocsolver6v33100L16mfma_gemm_kernelIdiPKdPdPKS4_S6_EEv18rocblas_operation_S7_T0_S8_S8_T1_T2_lS8_S8_lT3_lS8_S8_lS9_T4_lS8_S8_l.num_named_barrier, 0
	.set _ZN9rocsolver6v33100L16mfma_gemm_kernelIdiPKdPdPKS4_S6_EEv18rocblas_operation_S7_T0_S8_S8_T1_T2_lS8_S8_lT3_lS8_S8_lS9_T4_lS8_S8_l.private_seg_size, 0
	.set _ZN9rocsolver6v33100L16mfma_gemm_kernelIdiPKdPdPKS4_S6_EEv18rocblas_operation_S7_T0_S8_S8_T1_T2_lS8_S8_lT3_lS8_S8_lS9_T4_lS8_S8_l.uses_vcc, 0
	.set _ZN9rocsolver6v33100L16mfma_gemm_kernelIdiPKdPdPKS4_S6_EEv18rocblas_operation_S7_T0_S8_S8_T1_T2_lS8_S8_lT3_lS8_S8_lS9_T4_lS8_S8_l.uses_flat_scratch, 0
	.set _ZN9rocsolver6v33100L16mfma_gemm_kernelIdiPKdPdPKS4_S6_EEv18rocblas_operation_S7_T0_S8_S8_T1_T2_lS8_S8_lT3_lS8_S8_lS9_T4_lS8_S8_l.has_dyn_sized_stack, 0
	.set _ZN9rocsolver6v33100L16mfma_gemm_kernelIdiPKdPdPKS4_S6_EEv18rocblas_operation_S7_T0_S8_S8_T1_T2_lS8_S8_lT3_lS8_S8_lS9_T4_lS8_S8_l.has_recursion, 0
	.set _ZN9rocsolver6v33100L16mfma_gemm_kernelIdiPKdPdPKS4_S6_EEv18rocblas_operation_S7_T0_S8_S8_T1_T2_lS8_S8_lT3_lS8_S8_lS9_T4_lS8_S8_l.has_indirect_call, 0
	.section	.AMDGPU.csdata,"",@progbits
; Kernel info:
; codeLenInByte = 4
; TotalNumSgprs: 4
; NumVgprs: 0
; ScratchSize: 0
; MemoryBound: 0
; FloatMode: 240
; IeeeMode: 1
; LDSByteSize: 0 bytes/workgroup (compile time only)
; SGPRBlocks: 0
; VGPRBlocks: 0
; NumSGPRsForWavesPerEU: 4
; NumVGPRsForWavesPerEU: 1
; Occupancy: 10
; WaveLimiterHint : 0
; COMPUTE_PGM_RSRC2:SCRATCH_EN: 0
; COMPUTE_PGM_RSRC2:USER_SGPR: 6
; COMPUTE_PGM_RSRC2:TRAP_HANDLER: 0
; COMPUTE_PGM_RSRC2:TGID_X_EN: 1
; COMPUTE_PGM_RSRC2:TGID_Y_EN: 0
; COMPUTE_PGM_RSRC2:TGID_Z_EN: 0
; COMPUTE_PGM_RSRC2:TIDIG_COMP_CNT: 0
	.section	.text._ZN9rocsolver6v33100L16mfma_gemm_kernelIdidPdPKS2_S4_EEv18rocblas_operation_S5_T0_S6_S6_T1_T2_lS6_S6_lT3_lS6_S6_lS7_T4_lS6_S6_l,"axG",@progbits,_ZN9rocsolver6v33100L16mfma_gemm_kernelIdidPdPKS2_S4_EEv18rocblas_operation_S5_T0_S6_S6_T1_T2_lS6_S6_lT3_lS6_S6_lS7_T4_lS6_S6_l,comdat
	.globl	_ZN9rocsolver6v33100L16mfma_gemm_kernelIdidPdPKS2_S4_EEv18rocblas_operation_S5_T0_S6_S6_T1_T2_lS6_S6_lT3_lS6_S6_lS7_T4_lS6_S6_l ; -- Begin function _ZN9rocsolver6v33100L16mfma_gemm_kernelIdidPdPKS2_S4_EEv18rocblas_operation_S5_T0_S6_S6_T1_T2_lS6_S6_lT3_lS6_S6_lS7_T4_lS6_S6_l
	.p2align	8
	.type	_ZN9rocsolver6v33100L16mfma_gemm_kernelIdidPdPKS2_S4_EEv18rocblas_operation_S5_T0_S6_S6_T1_T2_lS6_S6_lT3_lS6_S6_lS7_T4_lS6_S6_l,@function
_ZN9rocsolver6v33100L16mfma_gemm_kernelIdidPdPKS2_S4_EEv18rocblas_operation_S5_T0_S6_S6_T1_T2_lS6_S6_lT3_lS6_S6_lS7_T4_lS6_S6_l: ; @_ZN9rocsolver6v33100L16mfma_gemm_kernelIdidPdPKS2_S4_EEv18rocblas_operation_S5_T0_S6_S6_T1_T2_lS6_S6_lT3_lS6_S6_lS7_T4_lS6_S6_l
; %bb.0:
	s_endpgm
	.section	.rodata,"a",@progbits
	.p2align	6, 0x0
	.amdhsa_kernel _ZN9rocsolver6v33100L16mfma_gemm_kernelIdidPdPKS2_S4_EEv18rocblas_operation_S5_T0_S6_S6_T1_T2_lS6_S6_lT3_lS6_S6_lS7_T4_lS6_S6_l
		.amdhsa_group_segment_fixed_size 0
		.amdhsa_private_segment_fixed_size 0
		.amdhsa_kernarg_size 136
		.amdhsa_user_sgpr_count 6
		.amdhsa_user_sgpr_private_segment_buffer 1
		.amdhsa_user_sgpr_dispatch_ptr 0
		.amdhsa_user_sgpr_queue_ptr 0
		.amdhsa_user_sgpr_kernarg_segment_ptr 1
		.amdhsa_user_sgpr_dispatch_id 0
		.amdhsa_user_sgpr_flat_scratch_init 0
		.amdhsa_user_sgpr_private_segment_size 0
		.amdhsa_uses_dynamic_stack 0
		.amdhsa_system_sgpr_private_segment_wavefront_offset 0
		.amdhsa_system_sgpr_workgroup_id_x 1
		.amdhsa_system_sgpr_workgroup_id_y 0
		.amdhsa_system_sgpr_workgroup_id_z 0
		.amdhsa_system_sgpr_workgroup_info 0
		.amdhsa_system_vgpr_workitem_id 0
		.amdhsa_next_free_vgpr 1
		.amdhsa_next_free_sgpr 0
		.amdhsa_reserve_vcc 0
		.amdhsa_reserve_flat_scratch 0
		.amdhsa_float_round_mode_32 0
		.amdhsa_float_round_mode_16_64 0
		.amdhsa_float_denorm_mode_32 3
		.amdhsa_float_denorm_mode_16_64 3
		.amdhsa_dx10_clamp 1
		.amdhsa_ieee_mode 1
		.amdhsa_fp16_overflow 0
		.amdhsa_exception_fp_ieee_invalid_op 0
		.amdhsa_exception_fp_denorm_src 0
		.amdhsa_exception_fp_ieee_div_zero 0
		.amdhsa_exception_fp_ieee_overflow 0
		.amdhsa_exception_fp_ieee_underflow 0
		.amdhsa_exception_fp_ieee_inexact 0
		.amdhsa_exception_int_div_zero 0
	.end_amdhsa_kernel
	.section	.text._ZN9rocsolver6v33100L16mfma_gemm_kernelIdidPdPKS2_S4_EEv18rocblas_operation_S5_T0_S6_S6_T1_T2_lS6_S6_lT3_lS6_S6_lS7_T4_lS6_S6_l,"axG",@progbits,_ZN9rocsolver6v33100L16mfma_gemm_kernelIdidPdPKS2_S4_EEv18rocblas_operation_S5_T0_S6_S6_T1_T2_lS6_S6_lT3_lS6_S6_lS7_T4_lS6_S6_l,comdat
.Lfunc_end10:
	.size	_ZN9rocsolver6v33100L16mfma_gemm_kernelIdidPdPKS2_S4_EEv18rocblas_operation_S5_T0_S6_S6_T1_T2_lS6_S6_lT3_lS6_S6_lS7_T4_lS6_S6_l, .Lfunc_end10-_ZN9rocsolver6v33100L16mfma_gemm_kernelIdidPdPKS2_S4_EEv18rocblas_operation_S5_T0_S6_S6_T1_T2_lS6_S6_lT3_lS6_S6_lS7_T4_lS6_S6_l
                                        ; -- End function
	.set _ZN9rocsolver6v33100L16mfma_gemm_kernelIdidPdPKS2_S4_EEv18rocblas_operation_S5_T0_S6_S6_T1_T2_lS6_S6_lT3_lS6_S6_lS7_T4_lS6_S6_l.num_vgpr, 0
	.set _ZN9rocsolver6v33100L16mfma_gemm_kernelIdidPdPKS2_S4_EEv18rocblas_operation_S5_T0_S6_S6_T1_T2_lS6_S6_lT3_lS6_S6_lS7_T4_lS6_S6_l.num_agpr, 0
	.set _ZN9rocsolver6v33100L16mfma_gemm_kernelIdidPdPKS2_S4_EEv18rocblas_operation_S5_T0_S6_S6_T1_T2_lS6_S6_lT3_lS6_S6_lS7_T4_lS6_S6_l.numbered_sgpr, 0
	.set _ZN9rocsolver6v33100L16mfma_gemm_kernelIdidPdPKS2_S4_EEv18rocblas_operation_S5_T0_S6_S6_T1_T2_lS6_S6_lT3_lS6_S6_lS7_T4_lS6_S6_l.num_named_barrier, 0
	.set _ZN9rocsolver6v33100L16mfma_gemm_kernelIdidPdPKS2_S4_EEv18rocblas_operation_S5_T0_S6_S6_T1_T2_lS6_S6_lT3_lS6_S6_lS7_T4_lS6_S6_l.private_seg_size, 0
	.set _ZN9rocsolver6v33100L16mfma_gemm_kernelIdidPdPKS2_S4_EEv18rocblas_operation_S5_T0_S6_S6_T1_T2_lS6_S6_lT3_lS6_S6_lS7_T4_lS6_S6_l.uses_vcc, 0
	.set _ZN9rocsolver6v33100L16mfma_gemm_kernelIdidPdPKS2_S4_EEv18rocblas_operation_S5_T0_S6_S6_T1_T2_lS6_S6_lT3_lS6_S6_lS7_T4_lS6_S6_l.uses_flat_scratch, 0
	.set _ZN9rocsolver6v33100L16mfma_gemm_kernelIdidPdPKS2_S4_EEv18rocblas_operation_S5_T0_S6_S6_T1_T2_lS6_S6_lT3_lS6_S6_lS7_T4_lS6_S6_l.has_dyn_sized_stack, 0
	.set _ZN9rocsolver6v33100L16mfma_gemm_kernelIdidPdPKS2_S4_EEv18rocblas_operation_S5_T0_S6_S6_T1_T2_lS6_S6_lT3_lS6_S6_lS7_T4_lS6_S6_l.has_recursion, 0
	.set _ZN9rocsolver6v33100L16mfma_gemm_kernelIdidPdPKS2_S4_EEv18rocblas_operation_S5_T0_S6_S6_T1_T2_lS6_S6_lT3_lS6_S6_lS7_T4_lS6_S6_l.has_indirect_call, 0
	.section	.AMDGPU.csdata,"",@progbits
; Kernel info:
; codeLenInByte = 4
; TotalNumSgprs: 4
; NumVgprs: 0
; ScratchSize: 0
; MemoryBound: 0
; FloatMode: 240
; IeeeMode: 1
; LDSByteSize: 0 bytes/workgroup (compile time only)
; SGPRBlocks: 0
; VGPRBlocks: 0
; NumSGPRsForWavesPerEU: 4
; NumVGPRsForWavesPerEU: 1
; Occupancy: 10
; WaveLimiterHint : 0
; COMPUTE_PGM_RSRC2:SCRATCH_EN: 0
; COMPUTE_PGM_RSRC2:USER_SGPR: 6
; COMPUTE_PGM_RSRC2:TRAP_HANDLER: 0
; COMPUTE_PGM_RSRC2:TGID_X_EN: 1
; COMPUTE_PGM_RSRC2:TGID_Y_EN: 0
; COMPUTE_PGM_RSRC2:TGID_Z_EN: 0
; COMPUTE_PGM_RSRC2:TIDIG_COMP_CNT: 0
	.section	.text._ZN9rocsolver6v33100L11gemm_kernelIdiPKdPdPKS4_S6_EEvT0_S7_S7_T1_bT2_lS7_S7_lbT3_lS7_S7_lS8_T4_lS7_S7_l,"axG",@progbits,_ZN9rocsolver6v33100L11gemm_kernelIdiPKdPdPKS4_S6_EEvT0_S7_S7_T1_bT2_lS7_S7_lbT3_lS7_S7_lS8_T4_lS7_S7_l,comdat
	.globl	_ZN9rocsolver6v33100L11gemm_kernelIdiPKdPdPKS4_S6_EEvT0_S7_S7_T1_bT2_lS7_S7_lbT3_lS7_S7_lS8_T4_lS7_S7_l ; -- Begin function _ZN9rocsolver6v33100L11gemm_kernelIdiPKdPdPKS4_S6_EEvT0_S7_S7_T1_bT2_lS7_S7_lbT3_lS7_S7_lS8_T4_lS7_S7_l
	.p2align	8
	.type	_ZN9rocsolver6v33100L11gemm_kernelIdiPKdPdPKS4_S6_EEvT0_S7_S7_T1_bT2_lS7_S7_lbT3_lS7_S7_lS8_T4_lS7_S7_l,@function
_ZN9rocsolver6v33100L11gemm_kernelIdiPKdPdPKS4_S6_EEvT0_S7_S7_T1_bT2_lS7_S7_lbT3_lS7_S7_lS8_T4_lS7_S7_l: ; @_ZN9rocsolver6v33100L11gemm_kernelIdiPKdPdPKS4_S6_EEvT0_S7_S7_T1_bT2_lS7_S7_lbT3_lS7_S7_lS8_T4_lS7_S7_l
; %bb.0:
	s_load_dword s9, s[4:5], 0x9c
	s_load_dwordx4 s[0:3], s[4:5], 0x0
	s_waitcnt lgkmcnt(0)
	s_lshr_b32 s3, s9, 16
	s_and_b32 s9, s9, 0xffff
	s_mul_i32 s6, s6, s9
	s_mul_i32 s7, s7, s3
	v_add_u32_e32 v7, s6, v0
	v_add_u32_e32 v6, s7, v1
	v_cmp_gt_i32_e32 vcc, s0, v7
	v_cmp_gt_i32_e64 s[0:1], s1, v6
	s_and_b64 s[0:1], vcc, s[0:1]
	s_and_saveexec_b64 s[6:7], s[0:1]
	s_cbranch_execz .LBB11_6
; %bb.1:
	s_load_dwordx4 s[20:23], s[4:5], 0x68
	s_load_dwordx2 s[10:11], s[4:5], 0x10
	s_load_dwordx2 s[0:1], s[4:5], 0x78
	s_ashr_i32 s9, s8, 31
	s_lshl_b64 s[24:25], s[8:9], 3
	s_waitcnt lgkmcnt(0)
	s_add_u32 s6, s22, s24
	s_addc_u32 s7, s23, s25
	s_load_dwordx2 s[6:7], s[6:7], 0x0
	s_cmp_lt_i32 s2, 1
	s_cbranch_scc1 .LBB11_4
; %bb.2:
	s_load_dwordx4 s[28:31], s[4:5], 0x48
	s_load_dwordx2 s[22:23], s[4:5], 0x58
	s_load_dwordx8 s[12:19], s[4:5], 0x20
	s_waitcnt lgkmcnt(0)
	s_add_u32 s24, s28, s24
	v_mul_lo_u32 v0, v6, s23
	s_addc_u32 s25, s29, s25
	s_load_dwordx2 s[24:25], s[24:25], 0x0
	s_lshl_b64 s[26:27], s[30:31], 3
	v_ashrrev_i32_e32 v1, 31, v0
	v_lshlrev_b64 v[0:1], 3, v[0:1]
	v_mul_lo_u32 v4, v7, s16
	s_waitcnt lgkmcnt(0)
	s_add_u32 s3, s24, s26
	v_add_co_u32_e32 v2, vcc, s3, v0
	s_mul_i32 s3, s18, s9
	s_mul_hi_u32 s9, s18, s8
	s_addc_u32 s16, s25, s27
	s_add_i32 s3, s9, s3
	s_mul_i32 s9, s19, s8
	s_ashr_i32 s23, s22, 31
	s_add_i32 s9, s3, s9
	s_mul_i32 s8, s18, s8
	s_lshl_b64 s[22:23], s[22:23], 3
	s_lshl_b64 s[8:9], s[8:9], 3
	;; [unrolled: 1-line block ×3, first 2 shown]
	s_add_u32 s3, s8, s14
	v_mov_b32_e32 v3, s16
	s_addc_u32 s8, s9, s15
	v_ashrrev_i32_e32 v5, 31, v4
	v_addc_co_u32_e32 v3, vcc, v3, v1, vcc
	v_lshlrev_b64 v[0:1], 3, v[4:5]
	s_add_u32 s3, s12, s3
	s_addc_u32 s8, s13, s8
	v_mov_b32_e32 v5, s8
	v_add_co_u32_e32 v4, vcc, s3, v0
	s_ashr_i32 s9, s17, 31
	s_mov_b32 s8, s17
	v_addc_co_u32_e32 v5, vcc, v5, v1, vcc
	s_lshl_b64 s[8:9], s[8:9], 3
	v_mov_b32_e32 v0, 0
	v_mov_b32_e32 v1, 0
	;; [unrolled: 1-line block ×4, first 2 shown]
.LBB11_3:                               ; =>This Inner Loop Header: Depth=1
	global_load_dwordx2 v[10:11], v[4:5], off
	flat_load_dwordx2 v[12:13], v[2:3]
	v_add_co_u32_e32 v2, vcc, s22, v2
	v_addc_co_u32_e32 v3, vcc, v3, v8, vcc
	v_add_co_u32_e32 v4, vcc, s8, v4
	s_add_i32 s2, s2, -1
	s_cmp_eq_u32 s2, 0
	v_addc_co_u32_e32 v5, vcc, v5, v9, vcc
	s_waitcnt vmcnt(0) lgkmcnt(0)
	v_fma_f64 v[0:1], v[10:11], v[12:13], v[0:1]
	s_cbranch_scc0 .LBB11_3
	s_branch .LBB11_5
.LBB11_4:
	v_mov_b32_e32 v0, 0
	v_mov_b32_e32 v1, 0
.LBB11_5:
	s_load_dwordx2 s[2:3], s[10:11], 0x0
	s_load_dwordx2 s[8:9], s[20:21], 0x0
                                        ; kill: killed $sgpr20_sgpr21
                                        ; kill: killed $sgpr10_sgpr11
	s_nop 0
	s_load_dwordx2 s[4:5], s[4:5], 0x80
	s_lshl_b64 s[0:1], s[0:1], 3
	s_waitcnt lgkmcnt(0)
	s_add_u32 s0, s6, s0
	s_addc_u32 s1, s7, s1
	v_mov_b32_e32 v4, s1
	v_mul_lo_u32 v2, v7, s4
	v_mad_u64_u32 v[2:3], s[4:5], v6, s5, v[2:3]
	v_ashrrev_i32_e32 v3, 31, v2
	v_lshlrev_b64 v[2:3], 3, v[2:3]
	v_add_co_u32_e32 v2, vcc, s0, v2
	v_addc_co_u32_e32 v3, vcc, v4, v3, vcc
	flat_load_dwordx2 v[4:5], v[2:3]
	s_waitcnt vmcnt(0) lgkmcnt(0)
	v_mul_f64 v[4:5], s[8:9], v[4:5]
	v_fma_f64 v[0:1], s[2:3], v[0:1], v[4:5]
	flat_store_dwordx2 v[2:3], v[0:1]
.LBB11_6:
	s_endpgm
	.section	.rodata,"a",@progbits
	.p2align	6, 0x0
	.amdhsa_kernel _ZN9rocsolver6v33100L11gemm_kernelIdiPKdPdPKS4_S6_EEvT0_S7_S7_T1_bT2_lS7_S7_lbT3_lS7_S7_lS8_T4_lS7_S7_l
		.amdhsa_group_segment_fixed_size 0
		.amdhsa_private_segment_fixed_size 0
		.amdhsa_kernarg_size 400
		.amdhsa_user_sgpr_count 6
		.amdhsa_user_sgpr_private_segment_buffer 1
		.amdhsa_user_sgpr_dispatch_ptr 0
		.amdhsa_user_sgpr_queue_ptr 0
		.amdhsa_user_sgpr_kernarg_segment_ptr 1
		.amdhsa_user_sgpr_dispatch_id 0
		.amdhsa_user_sgpr_flat_scratch_init 0
		.amdhsa_user_sgpr_private_segment_size 0
		.amdhsa_uses_dynamic_stack 0
		.amdhsa_system_sgpr_private_segment_wavefront_offset 0
		.amdhsa_system_sgpr_workgroup_id_x 1
		.amdhsa_system_sgpr_workgroup_id_y 1
		.amdhsa_system_sgpr_workgroup_id_z 1
		.amdhsa_system_sgpr_workgroup_info 0
		.amdhsa_system_vgpr_workitem_id 1
		.amdhsa_next_free_vgpr 14
		.amdhsa_next_free_sgpr 32
		.amdhsa_reserve_vcc 1
		.amdhsa_reserve_flat_scratch 0
		.amdhsa_float_round_mode_32 0
		.amdhsa_float_round_mode_16_64 0
		.amdhsa_float_denorm_mode_32 3
		.amdhsa_float_denorm_mode_16_64 3
		.amdhsa_dx10_clamp 1
		.amdhsa_ieee_mode 1
		.amdhsa_fp16_overflow 0
		.amdhsa_exception_fp_ieee_invalid_op 0
		.amdhsa_exception_fp_denorm_src 0
		.amdhsa_exception_fp_ieee_div_zero 0
		.amdhsa_exception_fp_ieee_overflow 0
		.amdhsa_exception_fp_ieee_underflow 0
		.amdhsa_exception_fp_ieee_inexact 0
		.amdhsa_exception_int_div_zero 0
	.end_amdhsa_kernel
	.section	.text._ZN9rocsolver6v33100L11gemm_kernelIdiPKdPdPKS4_S6_EEvT0_S7_S7_T1_bT2_lS7_S7_lbT3_lS7_S7_lS8_T4_lS7_S7_l,"axG",@progbits,_ZN9rocsolver6v33100L11gemm_kernelIdiPKdPdPKS4_S6_EEvT0_S7_S7_T1_bT2_lS7_S7_lbT3_lS7_S7_lS8_T4_lS7_S7_l,comdat
.Lfunc_end11:
	.size	_ZN9rocsolver6v33100L11gemm_kernelIdiPKdPdPKS4_S6_EEvT0_S7_S7_T1_bT2_lS7_S7_lbT3_lS7_S7_lS8_T4_lS7_S7_l, .Lfunc_end11-_ZN9rocsolver6v33100L11gemm_kernelIdiPKdPdPKS4_S6_EEvT0_S7_S7_T1_bT2_lS7_S7_lbT3_lS7_S7_lS8_T4_lS7_S7_l
                                        ; -- End function
	.set _ZN9rocsolver6v33100L11gemm_kernelIdiPKdPdPKS4_S6_EEvT0_S7_S7_T1_bT2_lS7_S7_lbT3_lS7_S7_lS8_T4_lS7_S7_l.num_vgpr, 14
	.set _ZN9rocsolver6v33100L11gemm_kernelIdiPKdPdPKS4_S6_EEvT0_S7_S7_T1_bT2_lS7_S7_lbT3_lS7_S7_lS8_T4_lS7_S7_l.num_agpr, 0
	.set _ZN9rocsolver6v33100L11gemm_kernelIdiPKdPdPKS4_S6_EEvT0_S7_S7_T1_bT2_lS7_S7_lbT3_lS7_S7_lS8_T4_lS7_S7_l.numbered_sgpr, 32
	.set _ZN9rocsolver6v33100L11gemm_kernelIdiPKdPdPKS4_S6_EEvT0_S7_S7_T1_bT2_lS7_S7_lbT3_lS7_S7_lS8_T4_lS7_S7_l.num_named_barrier, 0
	.set _ZN9rocsolver6v33100L11gemm_kernelIdiPKdPdPKS4_S6_EEvT0_S7_S7_T1_bT2_lS7_S7_lbT3_lS7_S7_lS8_T4_lS7_S7_l.private_seg_size, 0
	.set _ZN9rocsolver6v33100L11gemm_kernelIdiPKdPdPKS4_S6_EEvT0_S7_S7_T1_bT2_lS7_S7_lbT3_lS7_S7_lS8_T4_lS7_S7_l.uses_vcc, 1
	.set _ZN9rocsolver6v33100L11gemm_kernelIdiPKdPdPKS4_S6_EEvT0_S7_S7_T1_bT2_lS7_S7_lbT3_lS7_S7_lS8_T4_lS7_S7_l.uses_flat_scratch, 0
	.set _ZN9rocsolver6v33100L11gemm_kernelIdiPKdPdPKS4_S6_EEvT0_S7_S7_T1_bT2_lS7_S7_lbT3_lS7_S7_lS8_T4_lS7_S7_l.has_dyn_sized_stack, 0
	.set _ZN9rocsolver6v33100L11gemm_kernelIdiPKdPdPKS4_S6_EEvT0_S7_S7_T1_bT2_lS7_S7_lbT3_lS7_S7_lS8_T4_lS7_S7_l.has_recursion, 0
	.set _ZN9rocsolver6v33100L11gemm_kernelIdiPKdPdPKS4_S6_EEvT0_S7_S7_T1_bT2_lS7_S7_lbT3_lS7_S7_lS8_T4_lS7_S7_l.has_indirect_call, 0
	.section	.AMDGPU.csdata,"",@progbits
; Kernel info:
; codeLenInByte = 532
; TotalNumSgprs: 36
; NumVgprs: 14
; ScratchSize: 0
; MemoryBound: 0
; FloatMode: 240
; IeeeMode: 1
; LDSByteSize: 0 bytes/workgroup (compile time only)
; SGPRBlocks: 4
; VGPRBlocks: 3
; NumSGPRsForWavesPerEU: 36
; NumVGPRsForWavesPerEU: 14
; Occupancy: 10
; WaveLimiterHint : 1
; COMPUTE_PGM_RSRC2:SCRATCH_EN: 0
; COMPUTE_PGM_RSRC2:USER_SGPR: 6
; COMPUTE_PGM_RSRC2:TRAP_HANDLER: 0
; COMPUTE_PGM_RSRC2:TGID_X_EN: 1
; COMPUTE_PGM_RSRC2:TGID_Y_EN: 1
; COMPUTE_PGM_RSRC2:TGID_Z_EN: 1
; COMPUTE_PGM_RSRC2:TIDIG_COMP_CNT: 1
	.section	.text._ZN9rocsolver6v33100L11gemm_kernelIdidPdPKS2_S4_EEvT0_S5_S5_T1_bT2_lS5_S5_lbT3_lS5_S5_lS6_T4_lS5_S5_l,"axG",@progbits,_ZN9rocsolver6v33100L11gemm_kernelIdidPdPKS2_S4_EEvT0_S5_S5_T1_bT2_lS5_S5_lbT3_lS5_S5_lS6_T4_lS5_S5_l,comdat
	.globl	_ZN9rocsolver6v33100L11gemm_kernelIdidPdPKS2_S4_EEvT0_S5_S5_T1_bT2_lS5_S5_lbT3_lS5_S5_lS6_T4_lS5_S5_l ; -- Begin function _ZN9rocsolver6v33100L11gemm_kernelIdidPdPKS2_S4_EEvT0_S5_S5_T1_bT2_lS5_S5_lbT3_lS5_S5_lS6_T4_lS5_S5_l
	.p2align	8
	.type	_ZN9rocsolver6v33100L11gemm_kernelIdidPdPKS2_S4_EEvT0_S5_S5_T1_bT2_lS5_S5_lbT3_lS5_S5_lS6_T4_lS5_S5_l,@function
_ZN9rocsolver6v33100L11gemm_kernelIdidPdPKS2_S4_EEvT0_S5_S5_T1_bT2_lS5_S5_lbT3_lS5_S5_lS6_T4_lS5_S5_l: ; @_ZN9rocsolver6v33100L11gemm_kernelIdidPdPKS2_S4_EEvT0_S5_S5_T1_bT2_lS5_S5_lbT3_lS5_S5_lS6_T4_lS5_S5_l
; %bb.0:
	s_load_dword s0, s[4:5], 0x9c
	s_load_dwordx4 s[20:23], s[4:5], 0x0
	s_waitcnt lgkmcnt(0)
	s_lshr_b32 s1, s0, 16
	s_and_b32 s0, s0, 0xffff
	s_mul_i32 s6, s6, s0
	s_mul_i32 s7, s7, s1
	v_add_u32_e32 v7, s6, v0
	v_add_u32_e32 v6, s7, v1
	v_cmp_gt_i32_e32 vcc, s20, v7
	v_cmp_gt_i32_e64 s[0:1], s21, v6
	s_and_b64 s[0:1], vcc, s[0:1]
	s_and_saveexec_b64 s[2:3], s[0:1]
	s_cbranch_execz .LBB12_6
; %bb.1:
	s_load_dwordx4 s[0:3], s[4:5], 0x68
	s_load_dwordx2 s[6:7], s[4:5], 0x78
	s_ashr_i32 s9, s8, 31
	s_lshl_b64 s[10:11], s[8:9], 3
	s_waitcnt lgkmcnt(0)
	s_add_u32 s2, s2, s10
	s_addc_u32 s3, s3, s11
	s_load_dwordx2 s[2:3], s[2:3], 0x0
	s_cmp_lt_i32 s22, 1
	s_cbranch_scc1 .LBB12_4
; %bb.2:
	s_load_dwordx4 s[24:27], s[4:5], 0x48
	s_load_dwordx2 s[20:21], s[4:5], 0x58
	s_load_dwordx8 s[12:19], s[4:5], 0x20
	s_waitcnt lgkmcnt(0)
	s_add_u32 s10, s24, s10
	s_addc_u32 s11, s25, s11
	s_load_dwordx2 s[10:11], s[10:11], 0x0
	v_mul_lo_u32 v0, v6, s21
	s_lshl_b64 s[24:25], s[26:27], 3
	v_mul_lo_u32 v4, v7, s16
	s_mul_i32 s9, s18, s9
	v_ashrrev_i32_e32 v1, 31, v0
	s_waitcnt lgkmcnt(0)
	s_add_u32 s10, s10, s24
	s_mul_hi_u32 s16, s18, s8
	v_lshlrev_b64 v[0:1], 3, v[0:1]
	s_addc_u32 s11, s11, s25
	s_add_i32 s9, s16, s9
	s_mul_i32 s16, s19, s8
	s_ashr_i32 s21, s20, 31
	s_add_i32 s9, s9, s16
	s_mul_i32 s8, s18, s8
	v_mov_b32_e32 v3, s11
	v_add_co_u32_e32 v2, vcc, s10, v0
	s_lshl_b64 s[10:11], s[20:21], 3
	s_lshl_b64 s[8:9], s[8:9], 3
	;; [unrolled: 1-line block ×3, first 2 shown]
	s_add_u32 s8, s8, s14
	s_addc_u32 s9, s9, s15
	v_ashrrev_i32_e32 v5, 31, v4
	v_addc_co_u32_e32 v3, vcc, v3, v1, vcc
	v_lshlrev_b64 v[0:1], 3, v[4:5]
	s_add_u32 s8, s12, s8
	s_addc_u32 s9, s13, s9
	v_mov_b32_e32 v5, s9
	v_add_co_u32_e32 v4, vcc, s8, v0
	s_ashr_i32 s9, s17, 31
	s_mov_b32 s8, s17
	v_addc_co_u32_e32 v5, vcc, v5, v1, vcc
	s_lshl_b64 s[8:9], s[8:9], 3
	v_mov_b32_e32 v0, 0
	v_mov_b32_e32 v1, 0
	;; [unrolled: 1-line block ×4, first 2 shown]
.LBB12_3:                               ; =>This Inner Loop Header: Depth=1
	global_load_dwordx2 v[10:11], v[4:5], off
	flat_load_dwordx2 v[12:13], v[2:3]
	v_add_co_u32_e32 v2, vcc, s10, v2
	v_addc_co_u32_e32 v3, vcc, v3, v8, vcc
	v_add_co_u32_e32 v4, vcc, s8, v4
	s_add_i32 s22, s22, -1
	s_cmp_eq_u32 s22, 0
	v_addc_co_u32_e32 v5, vcc, v5, v9, vcc
	s_waitcnt vmcnt(0) lgkmcnt(0)
	v_fma_f64 v[0:1], v[10:11], v[12:13], v[0:1]
	s_cbranch_scc0 .LBB12_3
	s_branch .LBB12_5
.LBB12_4:
	v_mov_b32_e32 v0, 0
	v_mov_b32_e32 v1, 0
.LBB12_5:
	s_load_dwordx2 s[8:9], s[4:5], 0x80
	s_lshl_b64 s[6:7], s[6:7], 3
	s_waitcnt lgkmcnt(0)
	s_add_u32 s2, s2, s6
	s_addc_u32 s3, s3, s7
	v_mov_b32_e32 v4, s3
	v_mul_lo_u32 v2, v7, s8
	v_mad_u64_u32 v[2:3], s[8:9], v6, s9, v[2:3]
	v_ashrrev_i32_e32 v3, 31, v2
	v_lshlrev_b64 v[2:3], 3, v[2:3]
	v_add_co_u32_e32 v2, vcc, s2, v2
	v_addc_co_u32_e32 v3, vcc, v4, v3, vcc
	flat_load_dwordx2 v[4:5], v[2:3]
	s_waitcnt vmcnt(0) lgkmcnt(0)
	v_mul_f64 v[4:5], s[0:1], v[4:5]
	s_load_dwordx2 s[0:1], s[4:5], 0x10
	s_waitcnt lgkmcnt(0)
	v_fma_f64 v[0:1], s[0:1], v[0:1], v[4:5]
	flat_store_dwordx2 v[2:3], v[0:1]
.LBB12_6:
	s_endpgm
	.section	.rodata,"a",@progbits
	.p2align	6, 0x0
	.amdhsa_kernel _ZN9rocsolver6v33100L11gemm_kernelIdidPdPKS2_S4_EEvT0_S5_S5_T1_bT2_lS5_S5_lbT3_lS5_S5_lS6_T4_lS5_S5_l
		.amdhsa_group_segment_fixed_size 0
		.amdhsa_private_segment_fixed_size 0
		.amdhsa_kernarg_size 400
		.amdhsa_user_sgpr_count 6
		.amdhsa_user_sgpr_private_segment_buffer 1
		.amdhsa_user_sgpr_dispatch_ptr 0
		.amdhsa_user_sgpr_queue_ptr 0
		.amdhsa_user_sgpr_kernarg_segment_ptr 1
		.amdhsa_user_sgpr_dispatch_id 0
		.amdhsa_user_sgpr_flat_scratch_init 0
		.amdhsa_user_sgpr_private_segment_size 0
		.amdhsa_uses_dynamic_stack 0
		.amdhsa_system_sgpr_private_segment_wavefront_offset 0
		.amdhsa_system_sgpr_workgroup_id_x 1
		.amdhsa_system_sgpr_workgroup_id_y 1
		.amdhsa_system_sgpr_workgroup_id_z 1
		.amdhsa_system_sgpr_workgroup_info 0
		.amdhsa_system_vgpr_workitem_id 1
		.amdhsa_next_free_vgpr 14
		.amdhsa_next_free_sgpr 28
		.amdhsa_reserve_vcc 1
		.amdhsa_reserve_flat_scratch 0
		.amdhsa_float_round_mode_32 0
		.amdhsa_float_round_mode_16_64 0
		.amdhsa_float_denorm_mode_32 3
		.amdhsa_float_denorm_mode_16_64 3
		.amdhsa_dx10_clamp 1
		.amdhsa_ieee_mode 1
		.amdhsa_fp16_overflow 0
		.amdhsa_exception_fp_ieee_invalid_op 0
		.amdhsa_exception_fp_denorm_src 0
		.amdhsa_exception_fp_ieee_div_zero 0
		.amdhsa_exception_fp_ieee_overflow 0
		.amdhsa_exception_fp_ieee_underflow 0
		.amdhsa_exception_fp_ieee_inexact 0
		.amdhsa_exception_int_div_zero 0
	.end_amdhsa_kernel
	.section	.text._ZN9rocsolver6v33100L11gemm_kernelIdidPdPKS2_S4_EEvT0_S5_S5_T1_bT2_lS5_S5_lbT3_lS5_S5_lS6_T4_lS5_S5_l,"axG",@progbits,_ZN9rocsolver6v33100L11gemm_kernelIdidPdPKS2_S4_EEvT0_S5_S5_T1_bT2_lS5_S5_lbT3_lS5_S5_lS6_T4_lS5_S5_l,comdat
.Lfunc_end12:
	.size	_ZN9rocsolver6v33100L11gemm_kernelIdidPdPKS2_S4_EEvT0_S5_S5_T1_bT2_lS5_S5_lbT3_lS5_S5_lS6_T4_lS5_S5_l, .Lfunc_end12-_ZN9rocsolver6v33100L11gemm_kernelIdidPdPKS2_S4_EEvT0_S5_S5_T1_bT2_lS5_S5_lbT3_lS5_S5_lS6_T4_lS5_S5_l
                                        ; -- End function
	.set _ZN9rocsolver6v33100L11gemm_kernelIdidPdPKS2_S4_EEvT0_S5_S5_T1_bT2_lS5_S5_lbT3_lS5_S5_lS6_T4_lS5_S5_l.num_vgpr, 14
	.set _ZN9rocsolver6v33100L11gemm_kernelIdidPdPKS2_S4_EEvT0_S5_S5_T1_bT2_lS5_S5_lbT3_lS5_S5_lS6_T4_lS5_S5_l.num_agpr, 0
	.set _ZN9rocsolver6v33100L11gemm_kernelIdidPdPKS2_S4_EEvT0_S5_S5_T1_bT2_lS5_S5_lbT3_lS5_S5_lS6_T4_lS5_S5_l.numbered_sgpr, 28
	.set _ZN9rocsolver6v33100L11gemm_kernelIdidPdPKS2_S4_EEvT0_S5_S5_T1_bT2_lS5_S5_lbT3_lS5_S5_lS6_T4_lS5_S5_l.num_named_barrier, 0
	.set _ZN9rocsolver6v33100L11gemm_kernelIdidPdPKS2_S4_EEvT0_S5_S5_T1_bT2_lS5_S5_lbT3_lS5_S5_lS6_T4_lS5_S5_l.private_seg_size, 0
	.set _ZN9rocsolver6v33100L11gemm_kernelIdidPdPKS2_S4_EEvT0_S5_S5_T1_bT2_lS5_S5_lbT3_lS5_S5_lS6_T4_lS5_S5_l.uses_vcc, 1
	.set _ZN9rocsolver6v33100L11gemm_kernelIdidPdPKS2_S4_EEvT0_S5_S5_T1_bT2_lS5_S5_lbT3_lS5_S5_lS6_T4_lS5_S5_l.uses_flat_scratch, 0
	.set _ZN9rocsolver6v33100L11gemm_kernelIdidPdPKS2_S4_EEvT0_S5_S5_T1_bT2_lS5_S5_lbT3_lS5_S5_lS6_T4_lS5_S5_l.has_dyn_sized_stack, 0
	.set _ZN9rocsolver6v33100L11gemm_kernelIdidPdPKS2_S4_EEvT0_S5_S5_T1_bT2_lS5_S5_lbT3_lS5_S5_lS6_T4_lS5_S5_l.has_recursion, 0
	.set _ZN9rocsolver6v33100L11gemm_kernelIdidPdPKS2_S4_EEvT0_S5_S5_T1_bT2_lS5_S5_lbT3_lS5_S5_lS6_T4_lS5_S5_l.has_indirect_call, 0
	.section	.AMDGPU.csdata,"",@progbits
; Kernel info:
; codeLenInByte = 516
; TotalNumSgprs: 32
; NumVgprs: 14
; ScratchSize: 0
; MemoryBound: 0
; FloatMode: 240
; IeeeMode: 1
; LDSByteSize: 0 bytes/workgroup (compile time only)
; SGPRBlocks: 3
; VGPRBlocks: 3
; NumSGPRsForWavesPerEU: 32
; NumVGPRsForWavesPerEU: 14
; Occupancy: 10
; WaveLimiterHint : 1
; COMPUTE_PGM_RSRC2:SCRATCH_EN: 0
; COMPUTE_PGM_RSRC2:USER_SGPR: 6
; COMPUTE_PGM_RSRC2:TRAP_HANDLER: 0
; COMPUTE_PGM_RSRC2:TGID_X_EN: 1
; COMPUTE_PGM_RSRC2:TGID_Y_EN: 1
; COMPUTE_PGM_RSRC2:TGID_Z_EN: 1
; COMPUTE_PGM_RSRC2:TIDIG_COMP_CNT: 1
	.section	.text._ZN9rocsolver6v33100L16mfma_gemm_kernelIdiPKdPKPdS4_S6_EEv18rocblas_operation_S7_T0_S8_S8_T1_T2_lS8_S8_lT3_lS8_S8_lS9_T4_lS8_S8_l,"axG",@progbits,_ZN9rocsolver6v33100L16mfma_gemm_kernelIdiPKdPKPdS4_S6_EEv18rocblas_operation_S7_T0_S8_S8_T1_T2_lS8_S8_lT3_lS8_S8_lS9_T4_lS8_S8_l,comdat
	.globl	_ZN9rocsolver6v33100L16mfma_gemm_kernelIdiPKdPKPdS4_S6_EEv18rocblas_operation_S7_T0_S8_S8_T1_T2_lS8_S8_lT3_lS8_S8_lS9_T4_lS8_S8_l ; -- Begin function _ZN9rocsolver6v33100L16mfma_gemm_kernelIdiPKdPKPdS4_S6_EEv18rocblas_operation_S7_T0_S8_S8_T1_T2_lS8_S8_lT3_lS8_S8_lS9_T4_lS8_S8_l
	.p2align	8
	.type	_ZN9rocsolver6v33100L16mfma_gemm_kernelIdiPKdPKPdS4_S6_EEv18rocblas_operation_S7_T0_S8_S8_T1_T2_lS8_S8_lT3_lS8_S8_lS9_T4_lS8_S8_l,@function
_ZN9rocsolver6v33100L16mfma_gemm_kernelIdiPKdPKPdS4_S6_EEv18rocblas_operation_S7_T0_S8_S8_T1_T2_lS8_S8_lT3_lS8_S8_lS9_T4_lS8_S8_l: ; @_ZN9rocsolver6v33100L16mfma_gemm_kernelIdiPKdPKPdS4_S6_EEv18rocblas_operation_S7_T0_S8_S8_T1_T2_lS8_S8_lT3_lS8_S8_lS9_T4_lS8_S8_l
; %bb.0:
	s_endpgm
	.section	.rodata,"a",@progbits
	.p2align	6, 0x0
	.amdhsa_kernel _ZN9rocsolver6v33100L16mfma_gemm_kernelIdiPKdPKPdS4_S6_EEv18rocblas_operation_S7_T0_S8_S8_T1_T2_lS8_S8_lT3_lS8_S8_lS9_T4_lS8_S8_l
		.amdhsa_group_segment_fixed_size 0
		.amdhsa_private_segment_fixed_size 0
		.amdhsa_kernarg_size 136
		.amdhsa_user_sgpr_count 6
		.amdhsa_user_sgpr_private_segment_buffer 1
		.amdhsa_user_sgpr_dispatch_ptr 0
		.amdhsa_user_sgpr_queue_ptr 0
		.amdhsa_user_sgpr_kernarg_segment_ptr 1
		.amdhsa_user_sgpr_dispatch_id 0
		.amdhsa_user_sgpr_flat_scratch_init 0
		.amdhsa_user_sgpr_private_segment_size 0
		.amdhsa_uses_dynamic_stack 0
		.amdhsa_system_sgpr_private_segment_wavefront_offset 0
		.amdhsa_system_sgpr_workgroup_id_x 1
		.amdhsa_system_sgpr_workgroup_id_y 0
		.amdhsa_system_sgpr_workgroup_id_z 0
		.amdhsa_system_sgpr_workgroup_info 0
		.amdhsa_system_vgpr_workitem_id 0
		.amdhsa_next_free_vgpr 1
		.amdhsa_next_free_sgpr 0
		.amdhsa_reserve_vcc 0
		.amdhsa_reserve_flat_scratch 0
		.amdhsa_float_round_mode_32 0
		.amdhsa_float_round_mode_16_64 0
		.amdhsa_float_denorm_mode_32 3
		.amdhsa_float_denorm_mode_16_64 3
		.amdhsa_dx10_clamp 1
		.amdhsa_ieee_mode 1
		.amdhsa_fp16_overflow 0
		.amdhsa_exception_fp_ieee_invalid_op 0
		.amdhsa_exception_fp_denorm_src 0
		.amdhsa_exception_fp_ieee_div_zero 0
		.amdhsa_exception_fp_ieee_overflow 0
		.amdhsa_exception_fp_ieee_underflow 0
		.amdhsa_exception_fp_ieee_inexact 0
		.amdhsa_exception_int_div_zero 0
	.end_amdhsa_kernel
	.section	.text._ZN9rocsolver6v33100L16mfma_gemm_kernelIdiPKdPKPdS4_S6_EEv18rocblas_operation_S7_T0_S8_S8_T1_T2_lS8_S8_lT3_lS8_S8_lS9_T4_lS8_S8_l,"axG",@progbits,_ZN9rocsolver6v33100L16mfma_gemm_kernelIdiPKdPKPdS4_S6_EEv18rocblas_operation_S7_T0_S8_S8_T1_T2_lS8_S8_lT3_lS8_S8_lS9_T4_lS8_S8_l,comdat
.Lfunc_end13:
	.size	_ZN9rocsolver6v33100L16mfma_gemm_kernelIdiPKdPKPdS4_S6_EEv18rocblas_operation_S7_T0_S8_S8_T1_T2_lS8_S8_lT3_lS8_S8_lS9_T4_lS8_S8_l, .Lfunc_end13-_ZN9rocsolver6v33100L16mfma_gemm_kernelIdiPKdPKPdS4_S6_EEv18rocblas_operation_S7_T0_S8_S8_T1_T2_lS8_S8_lT3_lS8_S8_lS9_T4_lS8_S8_l
                                        ; -- End function
	.set _ZN9rocsolver6v33100L16mfma_gemm_kernelIdiPKdPKPdS4_S6_EEv18rocblas_operation_S7_T0_S8_S8_T1_T2_lS8_S8_lT3_lS8_S8_lS9_T4_lS8_S8_l.num_vgpr, 0
	.set _ZN9rocsolver6v33100L16mfma_gemm_kernelIdiPKdPKPdS4_S6_EEv18rocblas_operation_S7_T0_S8_S8_T1_T2_lS8_S8_lT3_lS8_S8_lS9_T4_lS8_S8_l.num_agpr, 0
	.set _ZN9rocsolver6v33100L16mfma_gemm_kernelIdiPKdPKPdS4_S6_EEv18rocblas_operation_S7_T0_S8_S8_T1_T2_lS8_S8_lT3_lS8_S8_lS9_T4_lS8_S8_l.numbered_sgpr, 0
	.set _ZN9rocsolver6v33100L16mfma_gemm_kernelIdiPKdPKPdS4_S6_EEv18rocblas_operation_S7_T0_S8_S8_T1_T2_lS8_S8_lT3_lS8_S8_lS9_T4_lS8_S8_l.num_named_barrier, 0
	.set _ZN9rocsolver6v33100L16mfma_gemm_kernelIdiPKdPKPdS4_S6_EEv18rocblas_operation_S7_T0_S8_S8_T1_T2_lS8_S8_lT3_lS8_S8_lS9_T4_lS8_S8_l.private_seg_size, 0
	.set _ZN9rocsolver6v33100L16mfma_gemm_kernelIdiPKdPKPdS4_S6_EEv18rocblas_operation_S7_T0_S8_S8_T1_T2_lS8_S8_lT3_lS8_S8_lS9_T4_lS8_S8_l.uses_vcc, 0
	.set _ZN9rocsolver6v33100L16mfma_gemm_kernelIdiPKdPKPdS4_S6_EEv18rocblas_operation_S7_T0_S8_S8_T1_T2_lS8_S8_lT3_lS8_S8_lS9_T4_lS8_S8_l.uses_flat_scratch, 0
	.set _ZN9rocsolver6v33100L16mfma_gemm_kernelIdiPKdPKPdS4_S6_EEv18rocblas_operation_S7_T0_S8_S8_T1_T2_lS8_S8_lT3_lS8_S8_lS9_T4_lS8_S8_l.has_dyn_sized_stack, 0
	.set _ZN9rocsolver6v33100L16mfma_gemm_kernelIdiPKdPKPdS4_S6_EEv18rocblas_operation_S7_T0_S8_S8_T1_T2_lS8_S8_lT3_lS8_S8_lS9_T4_lS8_S8_l.has_recursion, 0
	.set _ZN9rocsolver6v33100L16mfma_gemm_kernelIdiPKdPKPdS4_S6_EEv18rocblas_operation_S7_T0_S8_S8_T1_T2_lS8_S8_lT3_lS8_S8_lS9_T4_lS8_S8_l.has_indirect_call, 0
	.section	.AMDGPU.csdata,"",@progbits
; Kernel info:
; codeLenInByte = 4
; TotalNumSgprs: 4
; NumVgprs: 0
; ScratchSize: 0
; MemoryBound: 0
; FloatMode: 240
; IeeeMode: 1
; LDSByteSize: 0 bytes/workgroup (compile time only)
; SGPRBlocks: 0
; VGPRBlocks: 0
; NumSGPRsForWavesPerEU: 4
; NumVGPRsForWavesPerEU: 1
; Occupancy: 10
; WaveLimiterHint : 0
; COMPUTE_PGM_RSRC2:SCRATCH_EN: 0
; COMPUTE_PGM_RSRC2:USER_SGPR: 6
; COMPUTE_PGM_RSRC2:TRAP_HANDLER: 0
; COMPUTE_PGM_RSRC2:TGID_X_EN: 1
; COMPUTE_PGM_RSRC2:TGID_Y_EN: 0
; COMPUTE_PGM_RSRC2:TGID_Z_EN: 0
; COMPUTE_PGM_RSRC2:TIDIG_COMP_CNT: 0
	.section	.text._ZN9rocsolver6v33100L16mfma_gemm_kernelIdidPKPdS2_S4_EEv18rocblas_operation_S5_T0_S6_S6_T1_T2_lS6_S6_lT3_lS6_S6_lS7_T4_lS6_S6_l,"axG",@progbits,_ZN9rocsolver6v33100L16mfma_gemm_kernelIdidPKPdS2_S4_EEv18rocblas_operation_S5_T0_S6_S6_T1_T2_lS6_S6_lT3_lS6_S6_lS7_T4_lS6_S6_l,comdat
	.globl	_ZN9rocsolver6v33100L16mfma_gemm_kernelIdidPKPdS2_S4_EEv18rocblas_operation_S5_T0_S6_S6_T1_T2_lS6_S6_lT3_lS6_S6_lS7_T4_lS6_S6_l ; -- Begin function _ZN9rocsolver6v33100L16mfma_gemm_kernelIdidPKPdS2_S4_EEv18rocblas_operation_S5_T0_S6_S6_T1_T2_lS6_S6_lT3_lS6_S6_lS7_T4_lS6_S6_l
	.p2align	8
	.type	_ZN9rocsolver6v33100L16mfma_gemm_kernelIdidPKPdS2_S4_EEv18rocblas_operation_S5_T0_S6_S6_T1_T2_lS6_S6_lT3_lS6_S6_lS7_T4_lS6_S6_l,@function
_ZN9rocsolver6v33100L16mfma_gemm_kernelIdidPKPdS2_S4_EEv18rocblas_operation_S5_T0_S6_S6_T1_T2_lS6_S6_lT3_lS6_S6_lS7_T4_lS6_S6_l: ; @_ZN9rocsolver6v33100L16mfma_gemm_kernelIdidPKPdS2_S4_EEv18rocblas_operation_S5_T0_S6_S6_T1_T2_lS6_S6_lT3_lS6_S6_lS7_T4_lS6_S6_l
; %bb.0:
	s_endpgm
	.section	.rodata,"a",@progbits
	.p2align	6, 0x0
	.amdhsa_kernel _ZN9rocsolver6v33100L16mfma_gemm_kernelIdidPKPdS2_S4_EEv18rocblas_operation_S5_T0_S6_S6_T1_T2_lS6_S6_lT3_lS6_S6_lS7_T4_lS6_S6_l
		.amdhsa_group_segment_fixed_size 0
		.amdhsa_private_segment_fixed_size 0
		.amdhsa_kernarg_size 136
		.amdhsa_user_sgpr_count 6
		.amdhsa_user_sgpr_private_segment_buffer 1
		.amdhsa_user_sgpr_dispatch_ptr 0
		.amdhsa_user_sgpr_queue_ptr 0
		.amdhsa_user_sgpr_kernarg_segment_ptr 1
		.amdhsa_user_sgpr_dispatch_id 0
		.amdhsa_user_sgpr_flat_scratch_init 0
		.amdhsa_user_sgpr_private_segment_size 0
		.amdhsa_uses_dynamic_stack 0
		.amdhsa_system_sgpr_private_segment_wavefront_offset 0
		.amdhsa_system_sgpr_workgroup_id_x 1
		.amdhsa_system_sgpr_workgroup_id_y 0
		.amdhsa_system_sgpr_workgroup_id_z 0
		.amdhsa_system_sgpr_workgroup_info 0
		.amdhsa_system_vgpr_workitem_id 0
		.amdhsa_next_free_vgpr 1
		.amdhsa_next_free_sgpr 0
		.amdhsa_reserve_vcc 0
		.amdhsa_reserve_flat_scratch 0
		.amdhsa_float_round_mode_32 0
		.amdhsa_float_round_mode_16_64 0
		.amdhsa_float_denorm_mode_32 3
		.amdhsa_float_denorm_mode_16_64 3
		.amdhsa_dx10_clamp 1
		.amdhsa_ieee_mode 1
		.amdhsa_fp16_overflow 0
		.amdhsa_exception_fp_ieee_invalid_op 0
		.amdhsa_exception_fp_denorm_src 0
		.amdhsa_exception_fp_ieee_div_zero 0
		.amdhsa_exception_fp_ieee_overflow 0
		.amdhsa_exception_fp_ieee_underflow 0
		.amdhsa_exception_fp_ieee_inexact 0
		.amdhsa_exception_int_div_zero 0
	.end_amdhsa_kernel
	.section	.text._ZN9rocsolver6v33100L16mfma_gemm_kernelIdidPKPdS2_S4_EEv18rocblas_operation_S5_T0_S6_S6_T1_T2_lS6_S6_lT3_lS6_S6_lS7_T4_lS6_S6_l,"axG",@progbits,_ZN9rocsolver6v33100L16mfma_gemm_kernelIdidPKPdS2_S4_EEv18rocblas_operation_S5_T0_S6_S6_T1_T2_lS6_S6_lT3_lS6_S6_lS7_T4_lS6_S6_l,comdat
.Lfunc_end14:
	.size	_ZN9rocsolver6v33100L16mfma_gemm_kernelIdidPKPdS2_S4_EEv18rocblas_operation_S5_T0_S6_S6_T1_T2_lS6_S6_lT3_lS6_S6_lS7_T4_lS6_S6_l, .Lfunc_end14-_ZN9rocsolver6v33100L16mfma_gemm_kernelIdidPKPdS2_S4_EEv18rocblas_operation_S5_T0_S6_S6_T1_T2_lS6_S6_lT3_lS6_S6_lS7_T4_lS6_S6_l
                                        ; -- End function
	.set _ZN9rocsolver6v33100L16mfma_gemm_kernelIdidPKPdS2_S4_EEv18rocblas_operation_S5_T0_S6_S6_T1_T2_lS6_S6_lT3_lS6_S6_lS7_T4_lS6_S6_l.num_vgpr, 0
	.set _ZN9rocsolver6v33100L16mfma_gemm_kernelIdidPKPdS2_S4_EEv18rocblas_operation_S5_T0_S6_S6_T1_T2_lS6_S6_lT3_lS6_S6_lS7_T4_lS6_S6_l.num_agpr, 0
	.set _ZN9rocsolver6v33100L16mfma_gemm_kernelIdidPKPdS2_S4_EEv18rocblas_operation_S5_T0_S6_S6_T1_T2_lS6_S6_lT3_lS6_S6_lS7_T4_lS6_S6_l.numbered_sgpr, 0
	.set _ZN9rocsolver6v33100L16mfma_gemm_kernelIdidPKPdS2_S4_EEv18rocblas_operation_S5_T0_S6_S6_T1_T2_lS6_S6_lT3_lS6_S6_lS7_T4_lS6_S6_l.num_named_barrier, 0
	.set _ZN9rocsolver6v33100L16mfma_gemm_kernelIdidPKPdS2_S4_EEv18rocblas_operation_S5_T0_S6_S6_T1_T2_lS6_S6_lT3_lS6_S6_lS7_T4_lS6_S6_l.private_seg_size, 0
	.set _ZN9rocsolver6v33100L16mfma_gemm_kernelIdidPKPdS2_S4_EEv18rocblas_operation_S5_T0_S6_S6_T1_T2_lS6_S6_lT3_lS6_S6_lS7_T4_lS6_S6_l.uses_vcc, 0
	.set _ZN9rocsolver6v33100L16mfma_gemm_kernelIdidPKPdS2_S4_EEv18rocblas_operation_S5_T0_S6_S6_T1_T2_lS6_S6_lT3_lS6_S6_lS7_T4_lS6_S6_l.uses_flat_scratch, 0
	.set _ZN9rocsolver6v33100L16mfma_gemm_kernelIdidPKPdS2_S4_EEv18rocblas_operation_S5_T0_S6_S6_T1_T2_lS6_S6_lT3_lS6_S6_lS7_T4_lS6_S6_l.has_dyn_sized_stack, 0
	.set _ZN9rocsolver6v33100L16mfma_gemm_kernelIdidPKPdS2_S4_EEv18rocblas_operation_S5_T0_S6_S6_T1_T2_lS6_S6_lT3_lS6_S6_lS7_T4_lS6_S6_l.has_recursion, 0
	.set _ZN9rocsolver6v33100L16mfma_gemm_kernelIdidPKPdS2_S4_EEv18rocblas_operation_S5_T0_S6_S6_T1_T2_lS6_S6_lT3_lS6_S6_lS7_T4_lS6_S6_l.has_indirect_call, 0
	.section	.AMDGPU.csdata,"",@progbits
; Kernel info:
; codeLenInByte = 4
; TotalNumSgprs: 4
; NumVgprs: 0
; ScratchSize: 0
; MemoryBound: 0
; FloatMode: 240
; IeeeMode: 1
; LDSByteSize: 0 bytes/workgroup (compile time only)
; SGPRBlocks: 0
; VGPRBlocks: 0
; NumSGPRsForWavesPerEU: 4
; NumVGPRsForWavesPerEU: 1
; Occupancy: 10
; WaveLimiterHint : 0
; COMPUTE_PGM_RSRC2:SCRATCH_EN: 0
; COMPUTE_PGM_RSRC2:USER_SGPR: 6
; COMPUTE_PGM_RSRC2:TRAP_HANDLER: 0
; COMPUTE_PGM_RSRC2:TGID_X_EN: 1
; COMPUTE_PGM_RSRC2:TGID_Y_EN: 0
; COMPUTE_PGM_RSRC2:TGID_Z_EN: 0
; COMPUTE_PGM_RSRC2:TIDIG_COMP_CNT: 0
	.section	.text._ZN9rocsolver6v33100L11gemm_kernelIdiPKdPKPdS4_S6_EEvT0_S7_S7_T1_bT2_lS7_S7_lbT3_lS7_S7_lS8_T4_lS7_S7_l,"axG",@progbits,_ZN9rocsolver6v33100L11gemm_kernelIdiPKdPKPdS4_S6_EEvT0_S7_S7_T1_bT2_lS7_S7_lbT3_lS7_S7_lS8_T4_lS7_S7_l,comdat
	.globl	_ZN9rocsolver6v33100L11gemm_kernelIdiPKdPKPdS4_S6_EEvT0_S7_S7_T1_bT2_lS7_S7_lbT3_lS7_S7_lS8_T4_lS7_S7_l ; -- Begin function _ZN9rocsolver6v33100L11gemm_kernelIdiPKdPKPdS4_S6_EEvT0_S7_S7_T1_bT2_lS7_S7_lbT3_lS7_S7_lS8_T4_lS7_S7_l
	.p2align	8
	.type	_ZN9rocsolver6v33100L11gemm_kernelIdiPKdPKPdS4_S6_EEvT0_S7_S7_T1_bT2_lS7_S7_lbT3_lS7_S7_lS8_T4_lS7_S7_l,@function
_ZN9rocsolver6v33100L11gemm_kernelIdiPKdPKPdS4_S6_EEvT0_S7_S7_T1_bT2_lS7_S7_lbT3_lS7_S7_lS8_T4_lS7_S7_l: ; @_ZN9rocsolver6v33100L11gemm_kernelIdiPKdPKPdS4_S6_EEvT0_S7_S7_T1_bT2_lS7_S7_lbT3_lS7_S7_lS8_T4_lS7_S7_l
; %bb.0:
	s_load_dword s9, s[4:5], 0x9c
	s_load_dwordx4 s[0:3], s[4:5], 0x0
	s_waitcnt lgkmcnt(0)
	s_lshr_b32 s3, s9, 16
	s_and_b32 s9, s9, 0xffff
	s_mul_i32 s6, s6, s9
	s_mul_i32 s7, s7, s3
	v_add_u32_e32 v7, s6, v0
	v_add_u32_e32 v6, s7, v1
	v_cmp_gt_i32_e32 vcc, s0, v7
	v_cmp_gt_i32_e64 s[0:1], s1, v6
	s_and_b64 s[0:1], vcc, s[0:1]
	s_and_saveexec_b64 s[6:7], s[0:1]
	s_cbranch_execz .LBB15_6
; %bb.1:
	s_load_dwordx8 s[12:19], s[4:5], 0x60
	s_load_dwordx2 s[6:7], s[4:5], 0x10
	s_ashr_i32 s9, s8, 31
	s_lshl_b64 s[10:11], s[8:9], 3
	s_waitcnt lgkmcnt(0)
	s_add_u32 s0, s16, s10
	s_addc_u32 s1, s17, s11
	s_load_dwordx2 s[0:1], s[0:1], 0x0
	s_cmp_lt_i32 s2, 1
	s_cbranch_scc1 .LBB15_4
; %bb.2:
	s_load_dwordx4 s[20:23], s[4:5], 0x20
	s_load_dwordx2 s[16:17], s[4:5], 0x30
	s_load_dwordx4 s[24:27], s[4:5], 0x48
	s_load_dwordx2 s[28:29], s[4:5], 0x58
	s_mul_i32 s3, s12, s9
	s_waitcnt lgkmcnt(0)
	s_add_u32 s10, s20, s10
	s_mul_hi_u32 s9, s12, s8
	s_addc_u32 s11, s21, s11
	v_mul_lo_u32 v1, v6, s29
	s_add_i32 s3, s9, s3
	s_mul_i32 s9, s13, s8
	s_add_i32 s9, s3, s9
	s_mul_i32 s8, s12, s8
	s_lshl_b64 s[8:9], s[8:9], 3
	s_lshl_b64 s[12:13], s[26:27], 3
	s_add_u32 s3, s8, s12
	v_mul_lo_u32 v0, v7, s16
	s_load_dwordx2 s[10:11], s[10:11], 0x0
	s_addc_u32 s8, s9, s13
	v_ashrrev_i32_e32 v2, 31, v1
	v_lshlrev_b64 v[2:3], 3, v[1:2]
	s_add_u32 s3, s24, s3
	s_addc_u32 s8, s25, s8
	v_mov_b32_e32 v1, s8
	v_add_co_u32_e32 v2, vcc, s3, v2
	s_ashr_i32 s29, s28, 31
	v_addc_co_u32_e32 v3, vcc, v1, v3, vcc
	s_lshl_b64 s[8:9], s[28:29], 3
	s_lshl_b64 s[12:13], s[22:23], 3
	v_ashrrev_i32_e32 v1, 31, v0
	v_lshlrev_b64 v[0:1], 3, v[0:1]
	s_waitcnt lgkmcnt(0)
	s_add_u32 s3, s10, s12
	s_addc_u32 s10, s11, s13
	v_mov_b32_e32 v5, s10
	v_add_co_u32_e32 v4, vcc, s3, v0
	s_ashr_i32 s11, s17, 31
	s_mov_b32 s10, s17
	v_addc_co_u32_e32 v5, vcc, v5, v1, vcc
	s_lshl_b64 s[10:11], s[10:11], 3
	v_mov_b32_e32 v0, 0
	v_mov_b32_e32 v1, 0
	;; [unrolled: 1-line block ×4, first 2 shown]
.LBB15_3:                               ; =>This Inner Loop Header: Depth=1
	flat_load_dwordx2 v[10:11], v[4:5]
	global_load_dwordx2 v[12:13], v[2:3], off
	v_add_co_u32_e32 v2, vcc, s8, v2
	v_addc_co_u32_e32 v3, vcc, v3, v8, vcc
	v_add_co_u32_e32 v4, vcc, s10, v4
	s_add_i32 s2, s2, -1
	s_cmp_eq_u32 s2, 0
	v_addc_co_u32_e32 v5, vcc, v5, v9, vcc
	s_waitcnt vmcnt(0) lgkmcnt(0)
	v_fma_f64 v[0:1], v[10:11], v[12:13], v[0:1]
	s_cbranch_scc0 .LBB15_3
	s_branch .LBB15_5
.LBB15_4:
	v_mov_b32_e32 v0, 0
	v_mov_b32_e32 v1, 0
.LBB15_5:
	s_load_dwordx2 s[2:3], s[6:7], 0x0
	s_load_dwordx2 s[8:9], s[14:15], 0x0
                                        ; kill: killed $sgpr14_sgpr15
                                        ; kill: killed $sgpr6_sgpr7
	s_nop 0
	s_load_dwordx2 s[4:5], s[4:5], 0x80
	s_lshl_b64 s[6:7], s[18:19], 3
	s_waitcnt lgkmcnt(0)
	s_add_u32 s0, s0, s6
	s_addc_u32 s1, s1, s7
	v_mov_b32_e32 v4, s1
	v_mul_lo_u32 v2, v7, s4
	v_mad_u64_u32 v[2:3], s[4:5], v6, s5, v[2:3]
	v_ashrrev_i32_e32 v3, 31, v2
	v_lshlrev_b64 v[2:3], 3, v[2:3]
	v_add_co_u32_e32 v2, vcc, s0, v2
	v_addc_co_u32_e32 v3, vcc, v4, v3, vcc
	flat_load_dwordx2 v[4:5], v[2:3]
	s_waitcnt vmcnt(0) lgkmcnt(0)
	v_mul_f64 v[4:5], s[8:9], v[4:5]
	v_fma_f64 v[0:1], s[2:3], v[0:1], v[4:5]
	flat_store_dwordx2 v[2:3], v[0:1]
.LBB15_6:
	s_endpgm
	.section	.rodata,"a",@progbits
	.p2align	6, 0x0
	.amdhsa_kernel _ZN9rocsolver6v33100L11gemm_kernelIdiPKdPKPdS4_S6_EEvT0_S7_S7_T1_bT2_lS7_S7_lbT3_lS7_S7_lS8_T4_lS7_S7_l
		.amdhsa_group_segment_fixed_size 0
		.amdhsa_private_segment_fixed_size 0
		.amdhsa_kernarg_size 400
		.amdhsa_user_sgpr_count 6
		.amdhsa_user_sgpr_private_segment_buffer 1
		.amdhsa_user_sgpr_dispatch_ptr 0
		.amdhsa_user_sgpr_queue_ptr 0
		.amdhsa_user_sgpr_kernarg_segment_ptr 1
		.amdhsa_user_sgpr_dispatch_id 0
		.amdhsa_user_sgpr_flat_scratch_init 0
		.amdhsa_user_sgpr_private_segment_size 0
		.amdhsa_uses_dynamic_stack 0
		.amdhsa_system_sgpr_private_segment_wavefront_offset 0
		.amdhsa_system_sgpr_workgroup_id_x 1
		.amdhsa_system_sgpr_workgroup_id_y 1
		.amdhsa_system_sgpr_workgroup_id_z 1
		.amdhsa_system_sgpr_workgroup_info 0
		.amdhsa_system_vgpr_workitem_id 1
		.amdhsa_next_free_vgpr 14
		.amdhsa_next_free_sgpr 30
		.amdhsa_reserve_vcc 1
		.amdhsa_reserve_flat_scratch 0
		.amdhsa_float_round_mode_32 0
		.amdhsa_float_round_mode_16_64 0
		.amdhsa_float_denorm_mode_32 3
		.amdhsa_float_denorm_mode_16_64 3
		.amdhsa_dx10_clamp 1
		.amdhsa_ieee_mode 1
		.amdhsa_fp16_overflow 0
		.amdhsa_exception_fp_ieee_invalid_op 0
		.amdhsa_exception_fp_denorm_src 0
		.amdhsa_exception_fp_ieee_div_zero 0
		.amdhsa_exception_fp_ieee_overflow 0
		.amdhsa_exception_fp_ieee_underflow 0
		.amdhsa_exception_fp_ieee_inexact 0
		.amdhsa_exception_int_div_zero 0
	.end_amdhsa_kernel
	.section	.text._ZN9rocsolver6v33100L11gemm_kernelIdiPKdPKPdS4_S6_EEvT0_S7_S7_T1_bT2_lS7_S7_lbT3_lS7_S7_lS8_T4_lS7_S7_l,"axG",@progbits,_ZN9rocsolver6v33100L11gemm_kernelIdiPKdPKPdS4_S6_EEvT0_S7_S7_T1_bT2_lS7_S7_lbT3_lS7_S7_lS8_T4_lS7_S7_l,comdat
.Lfunc_end15:
	.size	_ZN9rocsolver6v33100L11gemm_kernelIdiPKdPKPdS4_S6_EEvT0_S7_S7_T1_bT2_lS7_S7_lbT3_lS7_S7_lS8_T4_lS7_S7_l, .Lfunc_end15-_ZN9rocsolver6v33100L11gemm_kernelIdiPKdPKPdS4_S6_EEvT0_S7_S7_T1_bT2_lS7_S7_lbT3_lS7_S7_lS8_T4_lS7_S7_l
                                        ; -- End function
	.set _ZN9rocsolver6v33100L11gemm_kernelIdiPKdPKPdS4_S6_EEvT0_S7_S7_T1_bT2_lS7_S7_lbT3_lS7_S7_lS8_T4_lS7_S7_l.num_vgpr, 14
	.set _ZN9rocsolver6v33100L11gemm_kernelIdiPKdPKPdS4_S6_EEvT0_S7_S7_T1_bT2_lS7_S7_lbT3_lS7_S7_lS8_T4_lS7_S7_l.num_agpr, 0
	.set _ZN9rocsolver6v33100L11gemm_kernelIdiPKdPKPdS4_S6_EEvT0_S7_S7_T1_bT2_lS7_S7_lbT3_lS7_S7_lS8_T4_lS7_S7_l.numbered_sgpr, 30
	.set _ZN9rocsolver6v33100L11gemm_kernelIdiPKdPKPdS4_S6_EEvT0_S7_S7_T1_bT2_lS7_S7_lbT3_lS7_S7_lS8_T4_lS7_S7_l.num_named_barrier, 0
	.set _ZN9rocsolver6v33100L11gemm_kernelIdiPKdPKPdS4_S6_EEvT0_S7_S7_T1_bT2_lS7_S7_lbT3_lS7_S7_lS8_T4_lS7_S7_l.private_seg_size, 0
	.set _ZN9rocsolver6v33100L11gemm_kernelIdiPKdPKPdS4_S6_EEvT0_S7_S7_T1_bT2_lS7_S7_lbT3_lS7_S7_lS8_T4_lS7_S7_l.uses_vcc, 1
	.set _ZN9rocsolver6v33100L11gemm_kernelIdiPKdPKPdS4_S6_EEvT0_S7_S7_T1_bT2_lS7_S7_lbT3_lS7_S7_lS8_T4_lS7_S7_l.uses_flat_scratch, 0
	.set _ZN9rocsolver6v33100L11gemm_kernelIdiPKdPKPdS4_S6_EEvT0_S7_S7_T1_bT2_lS7_S7_lbT3_lS7_S7_lS8_T4_lS7_S7_l.has_dyn_sized_stack, 0
	.set _ZN9rocsolver6v33100L11gemm_kernelIdiPKdPKPdS4_S6_EEvT0_S7_S7_T1_bT2_lS7_S7_lbT3_lS7_S7_lS8_T4_lS7_S7_l.has_recursion, 0
	.set _ZN9rocsolver6v33100L11gemm_kernelIdiPKdPKPdS4_S6_EEvT0_S7_S7_T1_bT2_lS7_S7_lbT3_lS7_S7_lS8_T4_lS7_S7_l.has_indirect_call, 0
	.section	.AMDGPU.csdata,"",@progbits
; Kernel info:
; codeLenInByte = 532
; TotalNumSgprs: 34
; NumVgprs: 14
; ScratchSize: 0
; MemoryBound: 0
; FloatMode: 240
; IeeeMode: 1
; LDSByteSize: 0 bytes/workgroup (compile time only)
; SGPRBlocks: 4
; VGPRBlocks: 3
; NumSGPRsForWavesPerEU: 34
; NumVGPRsForWavesPerEU: 14
; Occupancy: 10
; WaveLimiterHint : 1
; COMPUTE_PGM_RSRC2:SCRATCH_EN: 0
; COMPUTE_PGM_RSRC2:USER_SGPR: 6
; COMPUTE_PGM_RSRC2:TRAP_HANDLER: 0
; COMPUTE_PGM_RSRC2:TGID_X_EN: 1
; COMPUTE_PGM_RSRC2:TGID_Y_EN: 1
; COMPUTE_PGM_RSRC2:TGID_Z_EN: 1
; COMPUTE_PGM_RSRC2:TIDIG_COMP_CNT: 1
	.section	.text._ZN9rocsolver6v33100L11gemm_kernelIdidPKPdS2_S4_EEvT0_S5_S5_T1_bT2_lS5_S5_lbT3_lS5_S5_lS6_T4_lS5_S5_l,"axG",@progbits,_ZN9rocsolver6v33100L11gemm_kernelIdidPKPdS2_S4_EEvT0_S5_S5_T1_bT2_lS5_S5_lbT3_lS5_S5_lS6_T4_lS5_S5_l,comdat
	.globl	_ZN9rocsolver6v33100L11gemm_kernelIdidPKPdS2_S4_EEvT0_S5_S5_T1_bT2_lS5_S5_lbT3_lS5_S5_lS6_T4_lS5_S5_l ; -- Begin function _ZN9rocsolver6v33100L11gemm_kernelIdidPKPdS2_S4_EEvT0_S5_S5_T1_bT2_lS5_S5_lbT3_lS5_S5_lS6_T4_lS5_S5_l
	.p2align	8
	.type	_ZN9rocsolver6v33100L11gemm_kernelIdidPKPdS2_S4_EEvT0_S5_S5_T1_bT2_lS5_S5_lbT3_lS5_S5_lS6_T4_lS5_S5_l,@function
_ZN9rocsolver6v33100L11gemm_kernelIdidPKPdS2_S4_EEvT0_S5_S5_T1_bT2_lS5_S5_lbT3_lS5_S5_lS6_T4_lS5_S5_l: ; @_ZN9rocsolver6v33100L11gemm_kernelIdidPKPdS2_S4_EEvT0_S5_S5_T1_bT2_lS5_S5_lbT3_lS5_S5_lS6_T4_lS5_S5_l
; %bb.0:
	s_load_dword s9, s[4:5], 0x9c
	s_load_dwordx4 s[0:3], s[4:5], 0x0
	s_waitcnt lgkmcnt(0)
	s_lshr_b32 s3, s9, 16
	s_and_b32 s9, s9, 0xffff
	s_mul_i32 s6, s6, s9
	s_mul_i32 s7, s7, s3
	v_add_u32_e32 v7, s6, v0
	v_add_u32_e32 v6, s7, v1
	v_cmp_gt_i32_e32 vcc, s0, v7
	v_cmp_gt_i32_e64 s[0:1], s1, v6
	s_and_b64 s[0:1], vcc, s[0:1]
	s_and_saveexec_b64 s[6:7], s[0:1]
	s_cbranch_execz .LBB16_6
; %bb.1:
	s_load_dwordx8 s[12:19], s[4:5], 0x60
	s_ashr_i32 s9, s8, 31
	s_lshl_b64 s[6:7], s[8:9], 3
	s_waitcnt lgkmcnt(0)
	s_add_u32 s0, s16, s6
	s_addc_u32 s1, s17, s7
	s_load_dwordx2 s[0:1], s[0:1], 0x0
	s_cmp_lt_i32 s2, 1
	s_cbranch_scc1 .LBB16_4
; %bb.2:
	s_load_dwordx4 s[20:23], s[4:5], 0x20
	s_load_dwordx2 s[10:11], s[4:5], 0x30
	s_load_dwordx4 s[24:27], s[4:5], 0x48
	s_load_dwordx2 s[16:17], s[4:5], 0x58
	s_mul_i32 s3, s12, s9
	s_waitcnt lgkmcnt(0)
	s_add_u32 s6, s20, s6
	s_addc_u32 s7, s21, s7
	s_load_dwordx2 s[20:21], s[6:7], 0x0
	s_mul_hi_u32 s6, s12, s8
	v_mul_lo_u32 v1, v6, s17
	s_add_i32 s3, s6, s3
	s_mul_i32 s6, s13, s8
	s_add_i32 s7, s3, s6
	s_mul_i32 s6, s12, s8
	s_lshl_b64 s[6:7], s[6:7], 3
	s_lshl_b64 s[8:9], s[26:27], 3
	s_add_u32 s3, s6, s8
	v_mul_lo_u32 v0, v7, s10
	s_addc_u32 s6, s7, s9
	v_ashrrev_i32_e32 v2, 31, v1
	v_lshlrev_b64 v[2:3], 3, v[1:2]
	s_add_u32 s3, s24, s3
	s_addc_u32 s6, s25, s6
	v_mov_b32_e32 v1, s6
	v_add_co_u32_e32 v2, vcc, s3, v2
	s_ashr_i32 s17, s16, 31
	v_addc_co_u32_e32 v3, vcc, v1, v3, vcc
	s_lshl_b64 s[6:7], s[16:17], 3
	s_lshl_b64 s[8:9], s[22:23], 3
	v_ashrrev_i32_e32 v1, 31, v0
	v_lshlrev_b64 v[0:1], 3, v[0:1]
	s_waitcnt lgkmcnt(0)
	s_add_u32 s3, s20, s8
	s_addc_u32 s8, s21, s9
	v_mov_b32_e32 v5, s8
	v_add_co_u32_e32 v4, vcc, s3, v0
	s_ashr_i32 s9, s11, 31
	s_mov_b32 s8, s11
	v_addc_co_u32_e32 v5, vcc, v5, v1, vcc
	s_lshl_b64 s[8:9], s[8:9], 3
	v_mov_b32_e32 v0, 0
	v_mov_b32_e32 v1, 0
	;; [unrolled: 1-line block ×4, first 2 shown]
.LBB16_3:                               ; =>This Inner Loop Header: Depth=1
	flat_load_dwordx2 v[10:11], v[4:5]
	global_load_dwordx2 v[12:13], v[2:3], off
	v_add_co_u32_e32 v2, vcc, s6, v2
	v_addc_co_u32_e32 v3, vcc, v3, v8, vcc
	v_add_co_u32_e32 v4, vcc, s8, v4
	s_add_i32 s2, s2, -1
	s_cmp_eq_u32 s2, 0
	v_addc_co_u32_e32 v5, vcc, v5, v9, vcc
	s_waitcnt vmcnt(0) lgkmcnt(0)
	v_fma_f64 v[0:1], v[10:11], v[12:13], v[0:1]
	s_cbranch_scc0 .LBB16_3
	s_branch .LBB16_5
.LBB16_4:
	v_mov_b32_e32 v0, 0
	v_mov_b32_e32 v1, 0
.LBB16_5:
	s_load_dwordx2 s[2:3], s[4:5], 0x80
	s_lshl_b64 s[6:7], s[18:19], 3
	s_waitcnt lgkmcnt(0)
	s_add_u32 s0, s0, s6
	s_addc_u32 s1, s1, s7
	v_mov_b32_e32 v4, s1
	v_mul_lo_u32 v2, v7, s2
	v_mad_u64_u32 v[2:3], s[2:3], v6, s3, v[2:3]
	v_ashrrev_i32_e32 v3, 31, v2
	v_lshlrev_b64 v[2:3], 3, v[2:3]
	v_add_co_u32_e32 v2, vcc, s0, v2
	v_addc_co_u32_e32 v3, vcc, v4, v3, vcc
	flat_load_dwordx2 v[4:5], v[2:3]
	s_load_dwordx2 s[0:1], s[4:5], 0x10
	s_waitcnt vmcnt(0) lgkmcnt(0)
	v_mul_f64 v[4:5], s[14:15], v[4:5]
	v_fma_f64 v[0:1], s[0:1], v[0:1], v[4:5]
	flat_store_dwordx2 v[2:3], v[0:1]
.LBB16_6:
	s_endpgm
	.section	.rodata,"a",@progbits
	.p2align	6, 0x0
	.amdhsa_kernel _ZN9rocsolver6v33100L11gemm_kernelIdidPKPdS2_S4_EEvT0_S5_S5_T1_bT2_lS5_S5_lbT3_lS5_S5_lS6_T4_lS5_S5_l
		.amdhsa_group_segment_fixed_size 0
		.amdhsa_private_segment_fixed_size 0
		.amdhsa_kernarg_size 400
		.amdhsa_user_sgpr_count 6
		.amdhsa_user_sgpr_private_segment_buffer 1
		.amdhsa_user_sgpr_dispatch_ptr 0
		.amdhsa_user_sgpr_queue_ptr 0
		.amdhsa_user_sgpr_kernarg_segment_ptr 1
		.amdhsa_user_sgpr_dispatch_id 0
		.amdhsa_user_sgpr_flat_scratch_init 0
		.amdhsa_user_sgpr_private_segment_size 0
		.amdhsa_uses_dynamic_stack 0
		.amdhsa_system_sgpr_private_segment_wavefront_offset 0
		.amdhsa_system_sgpr_workgroup_id_x 1
		.amdhsa_system_sgpr_workgroup_id_y 1
		.amdhsa_system_sgpr_workgroup_id_z 1
		.amdhsa_system_sgpr_workgroup_info 0
		.amdhsa_system_vgpr_workitem_id 1
		.amdhsa_next_free_vgpr 14
		.amdhsa_next_free_sgpr 28
		.amdhsa_reserve_vcc 1
		.amdhsa_reserve_flat_scratch 0
		.amdhsa_float_round_mode_32 0
		.amdhsa_float_round_mode_16_64 0
		.amdhsa_float_denorm_mode_32 3
		.amdhsa_float_denorm_mode_16_64 3
		.amdhsa_dx10_clamp 1
		.amdhsa_ieee_mode 1
		.amdhsa_fp16_overflow 0
		.amdhsa_exception_fp_ieee_invalid_op 0
		.amdhsa_exception_fp_denorm_src 0
		.amdhsa_exception_fp_ieee_div_zero 0
		.amdhsa_exception_fp_ieee_overflow 0
		.amdhsa_exception_fp_ieee_underflow 0
		.amdhsa_exception_fp_ieee_inexact 0
		.amdhsa_exception_int_div_zero 0
	.end_amdhsa_kernel
	.section	.text._ZN9rocsolver6v33100L11gemm_kernelIdidPKPdS2_S4_EEvT0_S5_S5_T1_bT2_lS5_S5_lbT3_lS5_S5_lS6_T4_lS5_S5_l,"axG",@progbits,_ZN9rocsolver6v33100L11gemm_kernelIdidPKPdS2_S4_EEvT0_S5_S5_T1_bT2_lS5_S5_lbT3_lS5_S5_lS6_T4_lS5_S5_l,comdat
.Lfunc_end16:
	.size	_ZN9rocsolver6v33100L11gemm_kernelIdidPKPdS2_S4_EEvT0_S5_S5_T1_bT2_lS5_S5_lbT3_lS5_S5_lS6_T4_lS5_S5_l, .Lfunc_end16-_ZN9rocsolver6v33100L11gemm_kernelIdidPKPdS2_S4_EEvT0_S5_S5_T1_bT2_lS5_S5_lbT3_lS5_S5_lS6_T4_lS5_S5_l
                                        ; -- End function
	.set _ZN9rocsolver6v33100L11gemm_kernelIdidPKPdS2_S4_EEvT0_S5_S5_T1_bT2_lS5_S5_lbT3_lS5_S5_lS6_T4_lS5_S5_l.num_vgpr, 14
	.set _ZN9rocsolver6v33100L11gemm_kernelIdidPKPdS2_S4_EEvT0_S5_S5_T1_bT2_lS5_S5_lbT3_lS5_S5_lS6_T4_lS5_S5_l.num_agpr, 0
	.set _ZN9rocsolver6v33100L11gemm_kernelIdidPKPdS2_S4_EEvT0_S5_S5_T1_bT2_lS5_S5_lbT3_lS5_S5_lS6_T4_lS5_S5_l.numbered_sgpr, 28
	.set _ZN9rocsolver6v33100L11gemm_kernelIdidPKPdS2_S4_EEvT0_S5_S5_T1_bT2_lS5_S5_lbT3_lS5_S5_lS6_T4_lS5_S5_l.num_named_barrier, 0
	.set _ZN9rocsolver6v33100L11gemm_kernelIdidPKPdS2_S4_EEvT0_S5_S5_T1_bT2_lS5_S5_lbT3_lS5_S5_lS6_T4_lS5_S5_l.private_seg_size, 0
	.set _ZN9rocsolver6v33100L11gemm_kernelIdidPKPdS2_S4_EEvT0_S5_S5_T1_bT2_lS5_S5_lbT3_lS5_S5_lS6_T4_lS5_S5_l.uses_vcc, 1
	.set _ZN9rocsolver6v33100L11gemm_kernelIdidPKPdS2_S4_EEvT0_S5_S5_T1_bT2_lS5_S5_lbT3_lS5_S5_lS6_T4_lS5_S5_l.uses_flat_scratch, 0
	.set _ZN9rocsolver6v33100L11gemm_kernelIdidPKPdS2_S4_EEvT0_S5_S5_T1_bT2_lS5_S5_lbT3_lS5_S5_lS6_T4_lS5_S5_l.has_dyn_sized_stack, 0
	.set _ZN9rocsolver6v33100L11gemm_kernelIdidPKPdS2_S4_EEvT0_S5_S5_T1_bT2_lS5_S5_lbT3_lS5_S5_lS6_T4_lS5_S5_l.has_recursion, 0
	.set _ZN9rocsolver6v33100L11gemm_kernelIdidPKPdS2_S4_EEvT0_S5_S5_T1_bT2_lS5_S5_lbT3_lS5_S5_lS6_T4_lS5_S5_l.has_indirect_call, 0
	.section	.AMDGPU.csdata,"",@progbits
; Kernel info:
; codeLenInByte = 512
; TotalNumSgprs: 32
; NumVgprs: 14
; ScratchSize: 0
; MemoryBound: 0
; FloatMode: 240
; IeeeMode: 1
; LDSByteSize: 0 bytes/workgroup (compile time only)
; SGPRBlocks: 3
; VGPRBlocks: 3
; NumSGPRsForWavesPerEU: 32
; NumVGPRsForWavesPerEU: 14
; Occupancy: 10
; WaveLimiterHint : 1
; COMPUTE_PGM_RSRC2:SCRATCH_EN: 0
; COMPUTE_PGM_RSRC2:USER_SGPR: 6
; COMPUTE_PGM_RSRC2:TRAP_HANDLER: 0
; COMPUTE_PGM_RSRC2:TGID_X_EN: 1
; COMPUTE_PGM_RSRC2:TGID_Y_EN: 1
; COMPUTE_PGM_RSRC2:TGID_Z_EN: 1
; COMPUTE_PGM_RSRC2:TIDIG_COMP_CNT: 1
	.section	.text._ZN9rocsolver6v33100L16mfma_gemm_kernelIdiPKdPKPdS6_S4_EEv18rocblas_operation_S7_T0_S8_S8_T1_T2_lS8_S8_lT3_lS8_S8_lS9_T4_lS8_S8_l,"axG",@progbits,_ZN9rocsolver6v33100L16mfma_gemm_kernelIdiPKdPKPdS6_S4_EEv18rocblas_operation_S7_T0_S8_S8_T1_T2_lS8_S8_lT3_lS8_S8_lS9_T4_lS8_S8_l,comdat
	.globl	_ZN9rocsolver6v33100L16mfma_gemm_kernelIdiPKdPKPdS6_S4_EEv18rocblas_operation_S7_T0_S8_S8_T1_T2_lS8_S8_lT3_lS8_S8_lS9_T4_lS8_S8_l ; -- Begin function _ZN9rocsolver6v33100L16mfma_gemm_kernelIdiPKdPKPdS6_S4_EEv18rocblas_operation_S7_T0_S8_S8_T1_T2_lS8_S8_lT3_lS8_S8_lS9_T4_lS8_S8_l
	.p2align	8
	.type	_ZN9rocsolver6v33100L16mfma_gemm_kernelIdiPKdPKPdS6_S4_EEv18rocblas_operation_S7_T0_S8_S8_T1_T2_lS8_S8_lT3_lS8_S8_lS9_T4_lS8_S8_l,@function
_ZN9rocsolver6v33100L16mfma_gemm_kernelIdiPKdPKPdS6_S4_EEv18rocblas_operation_S7_T0_S8_S8_T1_T2_lS8_S8_lT3_lS8_S8_lS9_T4_lS8_S8_l: ; @_ZN9rocsolver6v33100L16mfma_gemm_kernelIdiPKdPKPdS6_S4_EEv18rocblas_operation_S7_T0_S8_S8_T1_T2_lS8_S8_lT3_lS8_S8_lS9_T4_lS8_S8_l
; %bb.0:
	s_endpgm
	.section	.rodata,"a",@progbits
	.p2align	6, 0x0
	.amdhsa_kernel _ZN9rocsolver6v33100L16mfma_gemm_kernelIdiPKdPKPdS6_S4_EEv18rocblas_operation_S7_T0_S8_S8_T1_T2_lS8_S8_lT3_lS8_S8_lS9_T4_lS8_S8_l
		.amdhsa_group_segment_fixed_size 0
		.amdhsa_private_segment_fixed_size 0
		.amdhsa_kernarg_size 136
		.amdhsa_user_sgpr_count 6
		.amdhsa_user_sgpr_private_segment_buffer 1
		.amdhsa_user_sgpr_dispatch_ptr 0
		.amdhsa_user_sgpr_queue_ptr 0
		.amdhsa_user_sgpr_kernarg_segment_ptr 1
		.amdhsa_user_sgpr_dispatch_id 0
		.amdhsa_user_sgpr_flat_scratch_init 0
		.amdhsa_user_sgpr_private_segment_size 0
		.amdhsa_uses_dynamic_stack 0
		.amdhsa_system_sgpr_private_segment_wavefront_offset 0
		.amdhsa_system_sgpr_workgroup_id_x 1
		.amdhsa_system_sgpr_workgroup_id_y 0
		.amdhsa_system_sgpr_workgroup_id_z 0
		.amdhsa_system_sgpr_workgroup_info 0
		.amdhsa_system_vgpr_workitem_id 0
		.amdhsa_next_free_vgpr 1
		.amdhsa_next_free_sgpr 0
		.amdhsa_reserve_vcc 0
		.amdhsa_reserve_flat_scratch 0
		.amdhsa_float_round_mode_32 0
		.amdhsa_float_round_mode_16_64 0
		.amdhsa_float_denorm_mode_32 3
		.amdhsa_float_denorm_mode_16_64 3
		.amdhsa_dx10_clamp 1
		.amdhsa_ieee_mode 1
		.amdhsa_fp16_overflow 0
		.amdhsa_exception_fp_ieee_invalid_op 0
		.amdhsa_exception_fp_denorm_src 0
		.amdhsa_exception_fp_ieee_div_zero 0
		.amdhsa_exception_fp_ieee_overflow 0
		.amdhsa_exception_fp_ieee_underflow 0
		.amdhsa_exception_fp_ieee_inexact 0
		.amdhsa_exception_int_div_zero 0
	.end_amdhsa_kernel
	.section	.text._ZN9rocsolver6v33100L16mfma_gemm_kernelIdiPKdPKPdS6_S4_EEv18rocblas_operation_S7_T0_S8_S8_T1_T2_lS8_S8_lT3_lS8_S8_lS9_T4_lS8_S8_l,"axG",@progbits,_ZN9rocsolver6v33100L16mfma_gemm_kernelIdiPKdPKPdS6_S4_EEv18rocblas_operation_S7_T0_S8_S8_T1_T2_lS8_S8_lT3_lS8_S8_lS9_T4_lS8_S8_l,comdat
.Lfunc_end17:
	.size	_ZN9rocsolver6v33100L16mfma_gemm_kernelIdiPKdPKPdS6_S4_EEv18rocblas_operation_S7_T0_S8_S8_T1_T2_lS8_S8_lT3_lS8_S8_lS9_T4_lS8_S8_l, .Lfunc_end17-_ZN9rocsolver6v33100L16mfma_gemm_kernelIdiPKdPKPdS6_S4_EEv18rocblas_operation_S7_T0_S8_S8_T1_T2_lS8_S8_lT3_lS8_S8_lS9_T4_lS8_S8_l
                                        ; -- End function
	.set _ZN9rocsolver6v33100L16mfma_gemm_kernelIdiPKdPKPdS6_S4_EEv18rocblas_operation_S7_T0_S8_S8_T1_T2_lS8_S8_lT3_lS8_S8_lS9_T4_lS8_S8_l.num_vgpr, 0
	.set _ZN9rocsolver6v33100L16mfma_gemm_kernelIdiPKdPKPdS6_S4_EEv18rocblas_operation_S7_T0_S8_S8_T1_T2_lS8_S8_lT3_lS8_S8_lS9_T4_lS8_S8_l.num_agpr, 0
	.set _ZN9rocsolver6v33100L16mfma_gemm_kernelIdiPKdPKPdS6_S4_EEv18rocblas_operation_S7_T0_S8_S8_T1_T2_lS8_S8_lT3_lS8_S8_lS9_T4_lS8_S8_l.numbered_sgpr, 0
	.set _ZN9rocsolver6v33100L16mfma_gemm_kernelIdiPKdPKPdS6_S4_EEv18rocblas_operation_S7_T0_S8_S8_T1_T2_lS8_S8_lT3_lS8_S8_lS9_T4_lS8_S8_l.num_named_barrier, 0
	.set _ZN9rocsolver6v33100L16mfma_gemm_kernelIdiPKdPKPdS6_S4_EEv18rocblas_operation_S7_T0_S8_S8_T1_T2_lS8_S8_lT3_lS8_S8_lS9_T4_lS8_S8_l.private_seg_size, 0
	.set _ZN9rocsolver6v33100L16mfma_gemm_kernelIdiPKdPKPdS6_S4_EEv18rocblas_operation_S7_T0_S8_S8_T1_T2_lS8_S8_lT3_lS8_S8_lS9_T4_lS8_S8_l.uses_vcc, 0
	.set _ZN9rocsolver6v33100L16mfma_gemm_kernelIdiPKdPKPdS6_S4_EEv18rocblas_operation_S7_T0_S8_S8_T1_T2_lS8_S8_lT3_lS8_S8_lS9_T4_lS8_S8_l.uses_flat_scratch, 0
	.set _ZN9rocsolver6v33100L16mfma_gemm_kernelIdiPKdPKPdS6_S4_EEv18rocblas_operation_S7_T0_S8_S8_T1_T2_lS8_S8_lT3_lS8_S8_lS9_T4_lS8_S8_l.has_dyn_sized_stack, 0
	.set _ZN9rocsolver6v33100L16mfma_gemm_kernelIdiPKdPKPdS6_S4_EEv18rocblas_operation_S7_T0_S8_S8_T1_T2_lS8_S8_lT3_lS8_S8_lS9_T4_lS8_S8_l.has_recursion, 0
	.set _ZN9rocsolver6v33100L16mfma_gemm_kernelIdiPKdPKPdS6_S4_EEv18rocblas_operation_S7_T0_S8_S8_T1_T2_lS8_S8_lT3_lS8_S8_lS9_T4_lS8_S8_l.has_indirect_call, 0
	.section	.AMDGPU.csdata,"",@progbits
; Kernel info:
; codeLenInByte = 4
; TotalNumSgprs: 4
; NumVgprs: 0
; ScratchSize: 0
; MemoryBound: 0
; FloatMode: 240
; IeeeMode: 1
; LDSByteSize: 0 bytes/workgroup (compile time only)
; SGPRBlocks: 0
; VGPRBlocks: 0
; NumSGPRsForWavesPerEU: 4
; NumVGPRsForWavesPerEU: 1
; Occupancy: 10
; WaveLimiterHint : 0
; COMPUTE_PGM_RSRC2:SCRATCH_EN: 0
; COMPUTE_PGM_RSRC2:USER_SGPR: 6
; COMPUTE_PGM_RSRC2:TRAP_HANDLER: 0
; COMPUTE_PGM_RSRC2:TGID_X_EN: 1
; COMPUTE_PGM_RSRC2:TGID_Y_EN: 0
; COMPUTE_PGM_RSRC2:TGID_Z_EN: 0
; COMPUTE_PGM_RSRC2:TIDIG_COMP_CNT: 0
	.section	.text._ZN9rocsolver6v33100L16mfma_gemm_kernelIdidPKPdS4_S2_EEv18rocblas_operation_S5_T0_S6_S6_T1_T2_lS6_S6_lT3_lS6_S6_lS7_T4_lS6_S6_l,"axG",@progbits,_ZN9rocsolver6v33100L16mfma_gemm_kernelIdidPKPdS4_S2_EEv18rocblas_operation_S5_T0_S6_S6_T1_T2_lS6_S6_lT3_lS6_S6_lS7_T4_lS6_S6_l,comdat
	.globl	_ZN9rocsolver6v33100L16mfma_gemm_kernelIdidPKPdS4_S2_EEv18rocblas_operation_S5_T0_S6_S6_T1_T2_lS6_S6_lT3_lS6_S6_lS7_T4_lS6_S6_l ; -- Begin function _ZN9rocsolver6v33100L16mfma_gemm_kernelIdidPKPdS4_S2_EEv18rocblas_operation_S5_T0_S6_S6_T1_T2_lS6_S6_lT3_lS6_S6_lS7_T4_lS6_S6_l
	.p2align	8
	.type	_ZN9rocsolver6v33100L16mfma_gemm_kernelIdidPKPdS4_S2_EEv18rocblas_operation_S5_T0_S6_S6_T1_T2_lS6_S6_lT3_lS6_S6_lS7_T4_lS6_S6_l,@function
_ZN9rocsolver6v33100L16mfma_gemm_kernelIdidPKPdS4_S2_EEv18rocblas_operation_S5_T0_S6_S6_T1_T2_lS6_S6_lT3_lS6_S6_lS7_T4_lS6_S6_l: ; @_ZN9rocsolver6v33100L16mfma_gemm_kernelIdidPKPdS4_S2_EEv18rocblas_operation_S5_T0_S6_S6_T1_T2_lS6_S6_lT3_lS6_S6_lS7_T4_lS6_S6_l
; %bb.0:
	s_endpgm
	.section	.rodata,"a",@progbits
	.p2align	6, 0x0
	.amdhsa_kernel _ZN9rocsolver6v33100L16mfma_gemm_kernelIdidPKPdS4_S2_EEv18rocblas_operation_S5_T0_S6_S6_T1_T2_lS6_S6_lT3_lS6_S6_lS7_T4_lS6_S6_l
		.amdhsa_group_segment_fixed_size 0
		.amdhsa_private_segment_fixed_size 0
		.amdhsa_kernarg_size 136
		.amdhsa_user_sgpr_count 6
		.amdhsa_user_sgpr_private_segment_buffer 1
		.amdhsa_user_sgpr_dispatch_ptr 0
		.amdhsa_user_sgpr_queue_ptr 0
		.amdhsa_user_sgpr_kernarg_segment_ptr 1
		.amdhsa_user_sgpr_dispatch_id 0
		.amdhsa_user_sgpr_flat_scratch_init 0
		.amdhsa_user_sgpr_private_segment_size 0
		.amdhsa_uses_dynamic_stack 0
		.amdhsa_system_sgpr_private_segment_wavefront_offset 0
		.amdhsa_system_sgpr_workgroup_id_x 1
		.amdhsa_system_sgpr_workgroup_id_y 0
		.amdhsa_system_sgpr_workgroup_id_z 0
		.amdhsa_system_sgpr_workgroup_info 0
		.amdhsa_system_vgpr_workitem_id 0
		.amdhsa_next_free_vgpr 1
		.amdhsa_next_free_sgpr 0
		.amdhsa_reserve_vcc 0
		.amdhsa_reserve_flat_scratch 0
		.amdhsa_float_round_mode_32 0
		.amdhsa_float_round_mode_16_64 0
		.amdhsa_float_denorm_mode_32 3
		.amdhsa_float_denorm_mode_16_64 3
		.amdhsa_dx10_clamp 1
		.amdhsa_ieee_mode 1
		.amdhsa_fp16_overflow 0
		.amdhsa_exception_fp_ieee_invalid_op 0
		.amdhsa_exception_fp_denorm_src 0
		.amdhsa_exception_fp_ieee_div_zero 0
		.amdhsa_exception_fp_ieee_overflow 0
		.amdhsa_exception_fp_ieee_underflow 0
		.amdhsa_exception_fp_ieee_inexact 0
		.amdhsa_exception_int_div_zero 0
	.end_amdhsa_kernel
	.section	.text._ZN9rocsolver6v33100L16mfma_gemm_kernelIdidPKPdS4_S2_EEv18rocblas_operation_S5_T0_S6_S6_T1_T2_lS6_S6_lT3_lS6_S6_lS7_T4_lS6_S6_l,"axG",@progbits,_ZN9rocsolver6v33100L16mfma_gemm_kernelIdidPKPdS4_S2_EEv18rocblas_operation_S5_T0_S6_S6_T1_T2_lS6_S6_lT3_lS6_S6_lS7_T4_lS6_S6_l,comdat
.Lfunc_end18:
	.size	_ZN9rocsolver6v33100L16mfma_gemm_kernelIdidPKPdS4_S2_EEv18rocblas_operation_S5_T0_S6_S6_T1_T2_lS6_S6_lT3_lS6_S6_lS7_T4_lS6_S6_l, .Lfunc_end18-_ZN9rocsolver6v33100L16mfma_gemm_kernelIdidPKPdS4_S2_EEv18rocblas_operation_S5_T0_S6_S6_T1_T2_lS6_S6_lT3_lS6_S6_lS7_T4_lS6_S6_l
                                        ; -- End function
	.set _ZN9rocsolver6v33100L16mfma_gemm_kernelIdidPKPdS4_S2_EEv18rocblas_operation_S5_T0_S6_S6_T1_T2_lS6_S6_lT3_lS6_S6_lS7_T4_lS6_S6_l.num_vgpr, 0
	.set _ZN9rocsolver6v33100L16mfma_gemm_kernelIdidPKPdS4_S2_EEv18rocblas_operation_S5_T0_S6_S6_T1_T2_lS6_S6_lT3_lS6_S6_lS7_T4_lS6_S6_l.num_agpr, 0
	.set _ZN9rocsolver6v33100L16mfma_gemm_kernelIdidPKPdS4_S2_EEv18rocblas_operation_S5_T0_S6_S6_T1_T2_lS6_S6_lT3_lS6_S6_lS7_T4_lS6_S6_l.numbered_sgpr, 0
	.set _ZN9rocsolver6v33100L16mfma_gemm_kernelIdidPKPdS4_S2_EEv18rocblas_operation_S5_T0_S6_S6_T1_T2_lS6_S6_lT3_lS6_S6_lS7_T4_lS6_S6_l.num_named_barrier, 0
	.set _ZN9rocsolver6v33100L16mfma_gemm_kernelIdidPKPdS4_S2_EEv18rocblas_operation_S5_T0_S6_S6_T1_T2_lS6_S6_lT3_lS6_S6_lS7_T4_lS6_S6_l.private_seg_size, 0
	.set _ZN9rocsolver6v33100L16mfma_gemm_kernelIdidPKPdS4_S2_EEv18rocblas_operation_S5_T0_S6_S6_T1_T2_lS6_S6_lT3_lS6_S6_lS7_T4_lS6_S6_l.uses_vcc, 0
	.set _ZN9rocsolver6v33100L16mfma_gemm_kernelIdidPKPdS4_S2_EEv18rocblas_operation_S5_T0_S6_S6_T1_T2_lS6_S6_lT3_lS6_S6_lS7_T4_lS6_S6_l.uses_flat_scratch, 0
	.set _ZN9rocsolver6v33100L16mfma_gemm_kernelIdidPKPdS4_S2_EEv18rocblas_operation_S5_T0_S6_S6_T1_T2_lS6_S6_lT3_lS6_S6_lS7_T4_lS6_S6_l.has_dyn_sized_stack, 0
	.set _ZN9rocsolver6v33100L16mfma_gemm_kernelIdidPKPdS4_S2_EEv18rocblas_operation_S5_T0_S6_S6_T1_T2_lS6_S6_lT3_lS6_S6_lS7_T4_lS6_S6_l.has_recursion, 0
	.set _ZN9rocsolver6v33100L16mfma_gemm_kernelIdidPKPdS4_S2_EEv18rocblas_operation_S5_T0_S6_S6_T1_T2_lS6_S6_lT3_lS6_S6_lS7_T4_lS6_S6_l.has_indirect_call, 0
	.section	.AMDGPU.csdata,"",@progbits
; Kernel info:
; codeLenInByte = 4
; TotalNumSgprs: 4
; NumVgprs: 0
; ScratchSize: 0
; MemoryBound: 0
; FloatMode: 240
; IeeeMode: 1
; LDSByteSize: 0 bytes/workgroup (compile time only)
; SGPRBlocks: 0
; VGPRBlocks: 0
; NumSGPRsForWavesPerEU: 4
; NumVGPRsForWavesPerEU: 1
; Occupancy: 10
; WaveLimiterHint : 0
; COMPUTE_PGM_RSRC2:SCRATCH_EN: 0
; COMPUTE_PGM_RSRC2:USER_SGPR: 6
; COMPUTE_PGM_RSRC2:TRAP_HANDLER: 0
; COMPUTE_PGM_RSRC2:TGID_X_EN: 1
; COMPUTE_PGM_RSRC2:TGID_Y_EN: 0
; COMPUTE_PGM_RSRC2:TGID_Z_EN: 0
; COMPUTE_PGM_RSRC2:TIDIG_COMP_CNT: 0
	.section	.text._ZN9rocsolver6v33100L11gemm_kernelIdiPKdPKPdS6_S4_EEvT0_S7_S7_T1_bT2_lS7_S7_lbT3_lS7_S7_lS8_T4_lS7_S7_l,"axG",@progbits,_ZN9rocsolver6v33100L11gemm_kernelIdiPKdPKPdS6_S4_EEvT0_S7_S7_T1_bT2_lS7_S7_lbT3_lS7_S7_lS8_T4_lS7_S7_l,comdat
	.globl	_ZN9rocsolver6v33100L11gemm_kernelIdiPKdPKPdS6_S4_EEvT0_S7_S7_T1_bT2_lS7_S7_lbT3_lS7_S7_lS8_T4_lS7_S7_l ; -- Begin function _ZN9rocsolver6v33100L11gemm_kernelIdiPKdPKPdS6_S4_EEvT0_S7_S7_T1_bT2_lS7_S7_lbT3_lS7_S7_lS8_T4_lS7_S7_l
	.p2align	8
	.type	_ZN9rocsolver6v33100L11gemm_kernelIdiPKdPKPdS6_S4_EEvT0_S7_S7_T1_bT2_lS7_S7_lbT3_lS7_S7_lS8_T4_lS7_S7_l,@function
_ZN9rocsolver6v33100L11gemm_kernelIdiPKdPKPdS6_S4_EEvT0_S7_S7_T1_bT2_lS7_S7_lbT3_lS7_S7_lS8_T4_lS7_S7_l: ; @_ZN9rocsolver6v33100L11gemm_kernelIdiPKdPKPdS6_S4_EEvT0_S7_S7_T1_bT2_lS7_S7_lbT3_lS7_S7_lS8_T4_lS7_S7_l
; %bb.0:
	s_load_dword s0, s[4:5], 0x9c
	s_load_dwordx4 s[12:15], s[4:5], 0x0
	s_waitcnt lgkmcnt(0)
	s_lshr_b32 s1, s0, 16
	s_and_b32 s0, s0, 0xffff
	s_mul_i32 s6, s6, s0
	s_mul_i32 s7, s7, s1
	v_add_u32_e32 v7, s6, v0
	v_add_u32_e32 v6, s7, v1
	v_cmp_gt_i32_e32 vcc, s12, v7
	v_cmp_gt_i32_e64 s[0:1], s13, v6
	s_and_b64 s[0:1], vcc, s[0:1]
	s_and_saveexec_b64 s[2:3], s[0:1]
	s_cbranch_execz .LBB19_6
; %bb.1:
	s_load_dwordx2 s[6:7], s[4:5], 0x78
	s_load_dwordx2 s[10:11], s[4:5], 0x10
	s_load_dwordx4 s[0:3], s[4:5], 0x68
	s_ashr_i32 s9, s8, 31
	s_cmp_lt_i32 s14, 1
	s_cbranch_scc1 .LBB19_4
; %bb.2:
	s_load_dwordx4 s[16:19], s[4:5], 0x20
	s_load_dwordx2 s[24:25], s[4:5], 0x30
	s_load_dwordx4 s[20:23], s[4:5], 0x48
	s_load_dwordx2 s[12:13], s[4:5], 0x58
	s_lshl_b64 s[26:27], s[8:9], 3
	s_waitcnt lgkmcnt(0)
	s_add_u32 s16, s16, s26
	s_addc_u32 s17, s17, s27
	s_add_u32 s20, s20, s26
	s_addc_u32 s21, s21, s27
	v_mul_lo_u32 v0, v6, s13
	s_load_dwordx2 s[20:21], s[20:21], 0x0
	v_mul_lo_u32 v4, v7, s24
	s_load_dwordx2 s[16:17], s[16:17], 0x0
	v_ashrrev_i32_e32 v1, 31, v0
	s_lshl_b64 s[22:23], s[22:23], 3
	v_lshlrev_b64 v[0:1], 3, v[0:1]
	s_waitcnt lgkmcnt(0)
	s_add_u32 s13, s20, s22
	s_addc_u32 s15, s21, s23
	v_add_co_u32_e32 v2, vcc, s13, v0
	s_ashr_i32 s13, s12, 31
	v_mov_b32_e32 v3, s15
	s_lshl_b64 s[12:13], s[12:13], 3
	s_lshl_b64 s[18:19], s[18:19], 3
	v_ashrrev_i32_e32 v5, 31, v4
	v_addc_co_u32_e32 v3, vcc, v3, v1, vcc
	v_lshlrev_b64 v[0:1], 3, v[4:5]
	s_add_u32 s15, s16, s18
	s_addc_u32 s16, s17, s19
	v_mov_b32_e32 v5, s16
	v_add_co_u32_e32 v4, vcc, s15, v0
	s_ashr_i32 s17, s25, 31
	s_mov_b32 s16, s25
	v_addc_co_u32_e32 v5, vcc, v5, v1, vcc
	s_lshl_b64 s[16:17], s[16:17], 3
	v_mov_b32_e32 v0, 0
	v_mov_b32_e32 v1, 0
	;; [unrolled: 1-line block ×4, first 2 shown]
.LBB19_3:                               ; =>This Inner Loop Header: Depth=1
	flat_load_dwordx2 v[10:11], v[4:5]
	flat_load_dwordx2 v[12:13], v[2:3]
	v_add_co_u32_e32 v2, vcc, s12, v2
	v_addc_co_u32_e32 v3, vcc, v3, v8, vcc
	v_add_co_u32_e32 v4, vcc, s16, v4
	s_add_i32 s14, s14, -1
	s_cmp_eq_u32 s14, 0
	v_addc_co_u32_e32 v5, vcc, v5, v9, vcc
	s_waitcnt vmcnt(0) lgkmcnt(0)
	v_fma_f64 v[0:1], v[10:11], v[12:13], v[0:1]
	s_cbranch_scc0 .LBB19_3
	s_branch .LBB19_5
.LBB19_4:
	v_mov_b32_e32 v0, 0
	v_mov_b32_e32 v1, 0
.LBB19_5:
	s_waitcnt lgkmcnt(0)
	s_load_dwordx2 s[12:13], s[10:11], 0x0
	s_load_dwordx2 s[14:15], s[0:1], 0x0
                                        ; kill: killed $sgpr10_sgpr11
                                        ; kill: killed $sgpr0_sgpr1
	s_load_dwordx4 s[16:19], s[4:5], 0x80
	s_waitcnt lgkmcnt(0)
	s_mul_i32 s1, s18, s9
	s_mul_hi_u32 s4, s18, s8
	s_mul_i32 s5, s19, s8
	v_mul_lo_u32 v2, v7, s16
	s_add_i32 s1, s4, s1
	s_mul_i32 s0, s18, s8
	s_add_i32 s1, s1, s5
	s_lshl_b64 s[0:1], s[0:1], 3
	s_add_u32 s2, s2, s0
	s_addc_u32 s3, s3, s1
	v_mad_u64_u32 v[2:3], s[0:1], v6, s17, v[2:3]
	s_lshl_b64 s[0:1], s[6:7], 3
	s_add_u32 s0, s2, s0
	v_ashrrev_i32_e32 v3, 31, v2
	v_lshlrev_b64 v[2:3], 3, v[2:3]
	s_addc_u32 s1, s3, s1
	v_mov_b32_e32 v4, s1
	v_add_co_u32_e32 v2, vcc, s0, v2
	v_addc_co_u32_e32 v3, vcc, v4, v3, vcc
	global_load_dwordx2 v[4:5], v[2:3], off
	s_waitcnt vmcnt(0)
	v_mul_f64 v[4:5], s[14:15], v[4:5]
	v_fma_f64 v[0:1], s[12:13], v[0:1], v[4:5]
	global_store_dwordx2 v[2:3], v[0:1], off
.LBB19_6:
	s_endpgm
	.section	.rodata,"a",@progbits
	.p2align	6, 0x0
	.amdhsa_kernel _ZN9rocsolver6v33100L11gemm_kernelIdiPKdPKPdS6_S4_EEvT0_S7_S7_T1_bT2_lS7_S7_lbT3_lS7_S7_lS8_T4_lS7_S7_l
		.amdhsa_group_segment_fixed_size 0
		.amdhsa_private_segment_fixed_size 0
		.amdhsa_kernarg_size 400
		.amdhsa_user_sgpr_count 6
		.amdhsa_user_sgpr_private_segment_buffer 1
		.amdhsa_user_sgpr_dispatch_ptr 0
		.amdhsa_user_sgpr_queue_ptr 0
		.amdhsa_user_sgpr_kernarg_segment_ptr 1
		.amdhsa_user_sgpr_dispatch_id 0
		.amdhsa_user_sgpr_flat_scratch_init 0
		.amdhsa_user_sgpr_private_segment_size 0
		.amdhsa_uses_dynamic_stack 0
		.amdhsa_system_sgpr_private_segment_wavefront_offset 0
		.amdhsa_system_sgpr_workgroup_id_x 1
		.amdhsa_system_sgpr_workgroup_id_y 1
		.amdhsa_system_sgpr_workgroup_id_z 1
		.amdhsa_system_sgpr_workgroup_info 0
		.amdhsa_system_vgpr_workitem_id 1
		.amdhsa_next_free_vgpr 14
		.amdhsa_next_free_sgpr 28
		.amdhsa_reserve_vcc 1
		.amdhsa_reserve_flat_scratch 0
		.amdhsa_float_round_mode_32 0
		.amdhsa_float_round_mode_16_64 0
		.amdhsa_float_denorm_mode_32 3
		.amdhsa_float_denorm_mode_16_64 3
		.amdhsa_dx10_clamp 1
		.amdhsa_ieee_mode 1
		.amdhsa_fp16_overflow 0
		.amdhsa_exception_fp_ieee_invalid_op 0
		.amdhsa_exception_fp_denorm_src 0
		.amdhsa_exception_fp_ieee_div_zero 0
		.amdhsa_exception_fp_ieee_overflow 0
		.amdhsa_exception_fp_ieee_underflow 0
		.amdhsa_exception_fp_ieee_inexact 0
		.amdhsa_exception_int_div_zero 0
	.end_amdhsa_kernel
	.section	.text._ZN9rocsolver6v33100L11gemm_kernelIdiPKdPKPdS6_S4_EEvT0_S7_S7_T1_bT2_lS7_S7_lbT3_lS7_S7_lS8_T4_lS7_S7_l,"axG",@progbits,_ZN9rocsolver6v33100L11gemm_kernelIdiPKdPKPdS6_S4_EEvT0_S7_S7_T1_bT2_lS7_S7_lbT3_lS7_S7_lS8_T4_lS7_S7_l,comdat
.Lfunc_end19:
	.size	_ZN9rocsolver6v33100L11gemm_kernelIdiPKdPKPdS6_S4_EEvT0_S7_S7_T1_bT2_lS7_S7_lbT3_lS7_S7_lS8_T4_lS7_S7_l, .Lfunc_end19-_ZN9rocsolver6v33100L11gemm_kernelIdiPKdPKPdS6_S4_EEvT0_S7_S7_T1_bT2_lS7_S7_lbT3_lS7_S7_lS8_T4_lS7_S7_l
                                        ; -- End function
	.set _ZN9rocsolver6v33100L11gemm_kernelIdiPKdPKPdS6_S4_EEvT0_S7_S7_T1_bT2_lS7_S7_lbT3_lS7_S7_lS8_T4_lS7_S7_l.num_vgpr, 14
	.set _ZN9rocsolver6v33100L11gemm_kernelIdiPKdPKPdS6_S4_EEvT0_S7_S7_T1_bT2_lS7_S7_lbT3_lS7_S7_lS8_T4_lS7_S7_l.num_agpr, 0
	.set _ZN9rocsolver6v33100L11gemm_kernelIdiPKdPKPdS6_S4_EEvT0_S7_S7_T1_bT2_lS7_S7_lbT3_lS7_S7_lS8_T4_lS7_S7_l.numbered_sgpr, 28
	.set _ZN9rocsolver6v33100L11gemm_kernelIdiPKdPKPdS6_S4_EEvT0_S7_S7_T1_bT2_lS7_S7_lbT3_lS7_S7_lS8_T4_lS7_S7_l.num_named_barrier, 0
	.set _ZN9rocsolver6v33100L11gemm_kernelIdiPKdPKPdS6_S4_EEvT0_S7_S7_T1_bT2_lS7_S7_lbT3_lS7_S7_lS8_T4_lS7_S7_l.private_seg_size, 0
	.set _ZN9rocsolver6v33100L11gemm_kernelIdiPKdPKPdS6_S4_EEvT0_S7_S7_T1_bT2_lS7_S7_lbT3_lS7_S7_lS8_T4_lS7_S7_l.uses_vcc, 1
	.set _ZN9rocsolver6v33100L11gemm_kernelIdiPKdPKPdS6_S4_EEvT0_S7_S7_T1_bT2_lS7_S7_lbT3_lS7_S7_lS8_T4_lS7_S7_l.uses_flat_scratch, 0
	.set _ZN9rocsolver6v33100L11gemm_kernelIdiPKdPKPdS6_S4_EEvT0_S7_S7_T1_bT2_lS7_S7_lbT3_lS7_S7_lS8_T4_lS7_S7_l.has_dyn_sized_stack, 0
	.set _ZN9rocsolver6v33100L11gemm_kernelIdiPKdPKPdS6_S4_EEvT0_S7_S7_T1_bT2_lS7_S7_lbT3_lS7_S7_lS8_T4_lS7_S7_l.has_recursion, 0
	.set _ZN9rocsolver6v33100L11gemm_kernelIdiPKdPKPdS6_S4_EEvT0_S7_S7_T1_bT2_lS7_S7_lbT3_lS7_S7_lS8_T4_lS7_S7_l.has_indirect_call, 0
	.section	.AMDGPU.csdata,"",@progbits
; Kernel info:
; codeLenInByte = 536
; TotalNumSgprs: 32
; NumVgprs: 14
; ScratchSize: 0
; MemoryBound: 0
; FloatMode: 240
; IeeeMode: 1
; LDSByteSize: 0 bytes/workgroup (compile time only)
; SGPRBlocks: 3
; VGPRBlocks: 3
; NumSGPRsForWavesPerEU: 32
; NumVGPRsForWavesPerEU: 14
; Occupancy: 10
; WaveLimiterHint : 1
; COMPUTE_PGM_RSRC2:SCRATCH_EN: 0
; COMPUTE_PGM_RSRC2:USER_SGPR: 6
; COMPUTE_PGM_RSRC2:TRAP_HANDLER: 0
; COMPUTE_PGM_RSRC2:TGID_X_EN: 1
; COMPUTE_PGM_RSRC2:TGID_Y_EN: 1
; COMPUTE_PGM_RSRC2:TGID_Z_EN: 1
; COMPUTE_PGM_RSRC2:TIDIG_COMP_CNT: 1
	.section	.text._ZN9rocsolver6v33100L11gemm_kernelIdidPKPdS4_S2_EEvT0_S5_S5_T1_bT2_lS5_S5_lbT3_lS5_S5_lS6_T4_lS5_S5_l,"axG",@progbits,_ZN9rocsolver6v33100L11gemm_kernelIdidPKPdS4_S2_EEvT0_S5_S5_T1_bT2_lS5_S5_lbT3_lS5_S5_lS6_T4_lS5_S5_l,comdat
	.globl	_ZN9rocsolver6v33100L11gemm_kernelIdidPKPdS4_S2_EEvT0_S5_S5_T1_bT2_lS5_S5_lbT3_lS5_S5_lS6_T4_lS5_S5_l ; -- Begin function _ZN9rocsolver6v33100L11gemm_kernelIdidPKPdS4_S2_EEvT0_S5_S5_T1_bT2_lS5_S5_lbT3_lS5_S5_lS6_T4_lS5_S5_l
	.p2align	8
	.type	_ZN9rocsolver6v33100L11gemm_kernelIdidPKPdS4_S2_EEvT0_S5_S5_T1_bT2_lS5_S5_lbT3_lS5_S5_lS6_T4_lS5_S5_l,@function
_ZN9rocsolver6v33100L11gemm_kernelIdidPKPdS4_S2_EEvT0_S5_S5_T1_bT2_lS5_S5_lbT3_lS5_S5_lS6_T4_lS5_S5_l: ; @_ZN9rocsolver6v33100L11gemm_kernelIdidPKPdS4_S2_EEvT0_S5_S5_T1_bT2_lS5_S5_lbT3_lS5_S5_lS6_T4_lS5_S5_l
; %bb.0:
	s_load_dword s9, s[4:5], 0x9c
	s_load_dwordx4 s[0:3], s[4:5], 0x0
	s_waitcnt lgkmcnt(0)
	s_lshr_b32 s3, s9, 16
	s_and_b32 s9, s9, 0xffff
	s_mul_i32 s6, s6, s9
	s_mul_i32 s7, s7, s3
	v_add_u32_e32 v7, s6, v0
	v_add_u32_e32 v6, s7, v1
	v_cmp_gt_i32_e32 vcc, s0, v7
	v_cmp_gt_i32_e64 s[0:1], s1, v6
	s_and_b64 s[0:1], vcc, s[0:1]
	s_and_saveexec_b64 s[6:7], s[0:1]
	s_cbranch_execz .LBB20_6
; %bb.1:
	s_ashr_i32 s9, s8, 31
	s_cmp_lt_i32 s2, 1
	s_cbranch_scc1 .LBB20_4
; %bb.2:
	s_load_dwordx4 s[12:15], s[4:5], 0x20
	s_load_dwordx2 s[6:7], s[4:5], 0x30
	s_load_dwordx4 s[16:19], s[4:5], 0x48
	s_load_dwordx2 s[0:1], s[4:5], 0x58
	s_lshl_b64 s[10:11], s[8:9], 3
	s_waitcnt lgkmcnt(0)
	s_add_u32 s12, s12, s10
	s_addc_u32 s13, s13, s11
	s_add_u32 s10, s16, s10
	s_addc_u32 s11, s17, s11
	v_mul_lo_u32 v0, v6, s1
	s_load_dwordx2 s[10:11], s[10:11], 0x0
	v_mul_lo_u32 v4, v7, s6
	s_load_dwordx2 s[12:13], s[12:13], 0x0
	v_ashrrev_i32_e32 v1, 31, v0
	s_lshl_b64 s[16:17], s[18:19], 3
	v_lshlrev_b64 v[0:1], 3, v[0:1]
	s_waitcnt lgkmcnt(0)
	s_add_u32 s1, s10, s16
	s_addc_u32 s3, s11, s17
	v_add_co_u32_e32 v2, vcc, s1, v0
	s_ashr_i32 s1, s0, 31
	v_mov_b32_e32 v3, s3
	s_lshl_b64 s[0:1], s[0:1], 3
	s_lshl_b64 s[10:11], s[14:15], 3
	v_ashrrev_i32_e32 v5, 31, v4
	v_addc_co_u32_e32 v3, vcc, v3, v1, vcc
	v_lshlrev_b64 v[0:1], 3, v[4:5]
	s_add_u32 s3, s12, s10
	s_addc_u32 s6, s13, s11
	v_mov_b32_e32 v5, s6
	v_add_co_u32_e32 v4, vcc, s3, v0
	s_ashr_i32 s11, s7, 31
	s_mov_b32 s10, s7
	v_addc_co_u32_e32 v5, vcc, v5, v1, vcc
	s_lshl_b64 s[6:7], s[10:11], 3
	v_mov_b32_e32 v0, 0
	v_mov_b32_e32 v1, 0
	v_mov_b32_e32 v8, s1
	v_mov_b32_e32 v9, s7
.LBB20_3:                               ; =>This Inner Loop Header: Depth=1
	flat_load_dwordx2 v[10:11], v[4:5]
	flat_load_dwordx2 v[12:13], v[2:3]
	v_add_co_u32_e32 v2, vcc, s0, v2
	v_addc_co_u32_e32 v3, vcc, v3, v8, vcc
	v_add_co_u32_e32 v4, vcc, s6, v4
	s_add_i32 s2, s2, -1
	s_cmp_eq_u32 s2, 0
	v_addc_co_u32_e32 v5, vcc, v5, v9, vcc
	s_waitcnt vmcnt(0) lgkmcnt(0)
	v_fma_f64 v[0:1], v[10:11], v[12:13], v[0:1]
	s_cbranch_scc0 .LBB20_3
	s_branch .LBB20_5
.LBB20_4:
	v_mov_b32_e32 v0, 0
	v_mov_b32_e32 v1, 0
.LBB20_5:
	s_load_dwordx2 s[0:1], s[4:5], 0x88
	s_load_dwordx8 s[12:19], s[4:5], 0x68
	s_waitcnt lgkmcnt(0)
	s_mul_i32 s2, s0, s9
	s_mul_hi_u32 s3, s0, s8
	s_mul_i32 s1, s1, s8
	s_add_i32 s2, s3, s2
	v_mul_lo_u32 v2, v7, s18
	s_mul_i32 s0, s0, s8
	s_add_i32 s1, s2, s1
	s_lshl_b64 s[0:1], s[0:1], 3
	s_add_u32 s2, s14, s0
	s_addc_u32 s3, s15, s1
	v_mad_u64_u32 v[2:3], s[0:1], v6, s19, v[2:3]
	s_lshl_b64 s[0:1], s[16:17], 3
	s_add_u32 s0, s2, s0
	v_ashrrev_i32_e32 v3, 31, v2
	v_lshlrev_b64 v[2:3], 3, v[2:3]
	s_addc_u32 s1, s3, s1
	v_mov_b32_e32 v4, s1
	v_add_co_u32_e32 v2, vcc, s0, v2
	v_addc_co_u32_e32 v3, vcc, v4, v3, vcc
	global_load_dwordx2 v[4:5], v[2:3], off
	s_load_dwordx2 s[0:1], s[4:5], 0x10
	s_waitcnt vmcnt(0)
	v_mul_f64 v[4:5], s[12:13], v[4:5]
	s_waitcnt lgkmcnt(0)
	v_fma_f64 v[0:1], s[0:1], v[0:1], v[4:5]
	global_store_dwordx2 v[2:3], v[0:1], off
.LBB20_6:
	s_endpgm
	.section	.rodata,"a",@progbits
	.p2align	6, 0x0
	.amdhsa_kernel _ZN9rocsolver6v33100L11gemm_kernelIdidPKPdS4_S2_EEvT0_S5_S5_T1_bT2_lS5_S5_lbT3_lS5_S5_lS6_T4_lS5_S5_l
		.amdhsa_group_segment_fixed_size 0
		.amdhsa_private_segment_fixed_size 0
		.amdhsa_kernarg_size 400
		.amdhsa_user_sgpr_count 6
		.amdhsa_user_sgpr_private_segment_buffer 1
		.amdhsa_user_sgpr_dispatch_ptr 0
		.amdhsa_user_sgpr_queue_ptr 0
		.amdhsa_user_sgpr_kernarg_segment_ptr 1
		.amdhsa_user_sgpr_dispatch_id 0
		.amdhsa_user_sgpr_flat_scratch_init 0
		.amdhsa_user_sgpr_private_segment_size 0
		.amdhsa_uses_dynamic_stack 0
		.amdhsa_system_sgpr_private_segment_wavefront_offset 0
		.amdhsa_system_sgpr_workgroup_id_x 1
		.amdhsa_system_sgpr_workgroup_id_y 1
		.amdhsa_system_sgpr_workgroup_id_z 1
		.amdhsa_system_sgpr_workgroup_info 0
		.amdhsa_system_vgpr_workitem_id 1
		.amdhsa_next_free_vgpr 14
		.amdhsa_next_free_sgpr 20
		.amdhsa_reserve_vcc 1
		.amdhsa_reserve_flat_scratch 0
		.amdhsa_float_round_mode_32 0
		.amdhsa_float_round_mode_16_64 0
		.amdhsa_float_denorm_mode_32 3
		.amdhsa_float_denorm_mode_16_64 3
		.amdhsa_dx10_clamp 1
		.amdhsa_ieee_mode 1
		.amdhsa_fp16_overflow 0
		.amdhsa_exception_fp_ieee_invalid_op 0
		.amdhsa_exception_fp_denorm_src 0
		.amdhsa_exception_fp_ieee_div_zero 0
		.amdhsa_exception_fp_ieee_overflow 0
		.amdhsa_exception_fp_ieee_underflow 0
		.amdhsa_exception_fp_ieee_inexact 0
		.amdhsa_exception_int_div_zero 0
	.end_amdhsa_kernel
	.section	.text._ZN9rocsolver6v33100L11gemm_kernelIdidPKPdS4_S2_EEvT0_S5_S5_T1_bT2_lS5_S5_lbT3_lS5_S5_lS6_T4_lS5_S5_l,"axG",@progbits,_ZN9rocsolver6v33100L11gemm_kernelIdidPKPdS4_S2_EEvT0_S5_S5_T1_bT2_lS5_S5_lbT3_lS5_S5_lS6_T4_lS5_S5_l,comdat
.Lfunc_end20:
	.size	_ZN9rocsolver6v33100L11gemm_kernelIdidPKPdS4_S2_EEvT0_S5_S5_T1_bT2_lS5_S5_lbT3_lS5_S5_lS6_T4_lS5_S5_l, .Lfunc_end20-_ZN9rocsolver6v33100L11gemm_kernelIdidPKPdS4_S2_EEvT0_S5_S5_T1_bT2_lS5_S5_lbT3_lS5_S5_lS6_T4_lS5_S5_l
                                        ; -- End function
	.set _ZN9rocsolver6v33100L11gemm_kernelIdidPKPdS4_S2_EEvT0_S5_S5_T1_bT2_lS5_S5_lbT3_lS5_S5_lS6_T4_lS5_S5_l.num_vgpr, 14
	.set _ZN9rocsolver6v33100L11gemm_kernelIdidPKPdS4_S2_EEvT0_S5_S5_T1_bT2_lS5_S5_lbT3_lS5_S5_lS6_T4_lS5_S5_l.num_agpr, 0
	.set _ZN9rocsolver6v33100L11gemm_kernelIdidPKPdS4_S2_EEvT0_S5_S5_T1_bT2_lS5_S5_lbT3_lS5_S5_lS6_T4_lS5_S5_l.numbered_sgpr, 20
	.set _ZN9rocsolver6v33100L11gemm_kernelIdidPKPdS4_S2_EEvT0_S5_S5_T1_bT2_lS5_S5_lbT3_lS5_S5_lS6_T4_lS5_S5_l.num_named_barrier, 0
	.set _ZN9rocsolver6v33100L11gemm_kernelIdidPKPdS4_S2_EEvT0_S5_S5_T1_bT2_lS5_S5_lbT3_lS5_S5_lS6_T4_lS5_S5_l.private_seg_size, 0
	.set _ZN9rocsolver6v33100L11gemm_kernelIdidPKPdS4_S2_EEvT0_S5_S5_T1_bT2_lS5_S5_lbT3_lS5_S5_lS6_T4_lS5_S5_l.uses_vcc, 1
	.set _ZN9rocsolver6v33100L11gemm_kernelIdidPKPdS4_S2_EEvT0_S5_S5_T1_bT2_lS5_S5_lbT3_lS5_S5_lS6_T4_lS5_S5_l.uses_flat_scratch, 0
	.set _ZN9rocsolver6v33100L11gemm_kernelIdidPKPdS4_S2_EEvT0_S5_S5_T1_bT2_lS5_S5_lbT3_lS5_S5_lS6_T4_lS5_S5_l.has_dyn_sized_stack, 0
	.set _ZN9rocsolver6v33100L11gemm_kernelIdidPKPdS4_S2_EEvT0_S5_S5_T1_bT2_lS5_S5_lbT3_lS5_S5_lS6_T4_lS5_S5_l.has_recursion, 0
	.set _ZN9rocsolver6v33100L11gemm_kernelIdidPKPdS4_S2_EEvT0_S5_S5_T1_bT2_lS5_S5_lbT3_lS5_S5_lS6_T4_lS5_S5_l.has_indirect_call, 0
	.section	.AMDGPU.csdata,"",@progbits
; Kernel info:
; codeLenInByte = 512
; TotalNumSgprs: 24
; NumVgprs: 14
; ScratchSize: 0
; MemoryBound: 0
; FloatMode: 240
; IeeeMode: 1
; LDSByteSize: 0 bytes/workgroup (compile time only)
; SGPRBlocks: 2
; VGPRBlocks: 3
; NumSGPRsForWavesPerEU: 24
; NumVGPRsForWavesPerEU: 14
; Occupancy: 10
; WaveLimiterHint : 1
; COMPUTE_PGM_RSRC2:SCRATCH_EN: 0
; COMPUTE_PGM_RSRC2:USER_SGPR: 6
; COMPUTE_PGM_RSRC2:TRAP_HANDLER: 0
; COMPUTE_PGM_RSRC2:TGID_X_EN: 1
; COMPUTE_PGM_RSRC2:TGID_Y_EN: 1
; COMPUTE_PGM_RSRC2:TGID_Z_EN: 1
; COMPUTE_PGM_RSRC2:TIDIG_COMP_CNT: 1
	.section	.text._ZN9rocsolver6v33100L16mfma_gemm_kernelIdiPKdPKPdS4_S4_EEv18rocblas_operation_S7_T0_S8_S8_T1_T2_lS8_S8_lT3_lS8_S8_lS9_T4_lS8_S8_l,"axG",@progbits,_ZN9rocsolver6v33100L16mfma_gemm_kernelIdiPKdPKPdS4_S4_EEv18rocblas_operation_S7_T0_S8_S8_T1_T2_lS8_S8_lT3_lS8_S8_lS9_T4_lS8_S8_l,comdat
	.globl	_ZN9rocsolver6v33100L16mfma_gemm_kernelIdiPKdPKPdS4_S4_EEv18rocblas_operation_S7_T0_S8_S8_T1_T2_lS8_S8_lT3_lS8_S8_lS9_T4_lS8_S8_l ; -- Begin function _ZN9rocsolver6v33100L16mfma_gemm_kernelIdiPKdPKPdS4_S4_EEv18rocblas_operation_S7_T0_S8_S8_T1_T2_lS8_S8_lT3_lS8_S8_lS9_T4_lS8_S8_l
	.p2align	8
	.type	_ZN9rocsolver6v33100L16mfma_gemm_kernelIdiPKdPKPdS4_S4_EEv18rocblas_operation_S7_T0_S8_S8_T1_T2_lS8_S8_lT3_lS8_S8_lS9_T4_lS8_S8_l,@function
_ZN9rocsolver6v33100L16mfma_gemm_kernelIdiPKdPKPdS4_S4_EEv18rocblas_operation_S7_T0_S8_S8_T1_T2_lS8_S8_lT3_lS8_S8_lS9_T4_lS8_S8_l: ; @_ZN9rocsolver6v33100L16mfma_gemm_kernelIdiPKdPKPdS4_S4_EEv18rocblas_operation_S7_T0_S8_S8_T1_T2_lS8_S8_lT3_lS8_S8_lS9_T4_lS8_S8_l
; %bb.0:
	s_endpgm
	.section	.rodata,"a",@progbits
	.p2align	6, 0x0
	.amdhsa_kernel _ZN9rocsolver6v33100L16mfma_gemm_kernelIdiPKdPKPdS4_S4_EEv18rocblas_operation_S7_T0_S8_S8_T1_T2_lS8_S8_lT3_lS8_S8_lS9_T4_lS8_S8_l
		.amdhsa_group_segment_fixed_size 0
		.amdhsa_private_segment_fixed_size 0
		.amdhsa_kernarg_size 136
		.amdhsa_user_sgpr_count 6
		.amdhsa_user_sgpr_private_segment_buffer 1
		.amdhsa_user_sgpr_dispatch_ptr 0
		.amdhsa_user_sgpr_queue_ptr 0
		.amdhsa_user_sgpr_kernarg_segment_ptr 1
		.amdhsa_user_sgpr_dispatch_id 0
		.amdhsa_user_sgpr_flat_scratch_init 0
		.amdhsa_user_sgpr_private_segment_size 0
		.amdhsa_uses_dynamic_stack 0
		.amdhsa_system_sgpr_private_segment_wavefront_offset 0
		.amdhsa_system_sgpr_workgroup_id_x 1
		.amdhsa_system_sgpr_workgroup_id_y 0
		.amdhsa_system_sgpr_workgroup_id_z 0
		.amdhsa_system_sgpr_workgroup_info 0
		.amdhsa_system_vgpr_workitem_id 0
		.amdhsa_next_free_vgpr 1
		.amdhsa_next_free_sgpr 0
		.amdhsa_reserve_vcc 0
		.amdhsa_reserve_flat_scratch 0
		.amdhsa_float_round_mode_32 0
		.amdhsa_float_round_mode_16_64 0
		.amdhsa_float_denorm_mode_32 3
		.amdhsa_float_denorm_mode_16_64 3
		.amdhsa_dx10_clamp 1
		.amdhsa_ieee_mode 1
		.amdhsa_fp16_overflow 0
		.amdhsa_exception_fp_ieee_invalid_op 0
		.amdhsa_exception_fp_denorm_src 0
		.amdhsa_exception_fp_ieee_div_zero 0
		.amdhsa_exception_fp_ieee_overflow 0
		.amdhsa_exception_fp_ieee_underflow 0
		.amdhsa_exception_fp_ieee_inexact 0
		.amdhsa_exception_int_div_zero 0
	.end_amdhsa_kernel
	.section	.text._ZN9rocsolver6v33100L16mfma_gemm_kernelIdiPKdPKPdS4_S4_EEv18rocblas_operation_S7_T0_S8_S8_T1_T2_lS8_S8_lT3_lS8_S8_lS9_T4_lS8_S8_l,"axG",@progbits,_ZN9rocsolver6v33100L16mfma_gemm_kernelIdiPKdPKPdS4_S4_EEv18rocblas_operation_S7_T0_S8_S8_T1_T2_lS8_S8_lT3_lS8_S8_lS9_T4_lS8_S8_l,comdat
.Lfunc_end21:
	.size	_ZN9rocsolver6v33100L16mfma_gemm_kernelIdiPKdPKPdS4_S4_EEv18rocblas_operation_S7_T0_S8_S8_T1_T2_lS8_S8_lT3_lS8_S8_lS9_T4_lS8_S8_l, .Lfunc_end21-_ZN9rocsolver6v33100L16mfma_gemm_kernelIdiPKdPKPdS4_S4_EEv18rocblas_operation_S7_T0_S8_S8_T1_T2_lS8_S8_lT3_lS8_S8_lS9_T4_lS8_S8_l
                                        ; -- End function
	.set _ZN9rocsolver6v33100L16mfma_gemm_kernelIdiPKdPKPdS4_S4_EEv18rocblas_operation_S7_T0_S8_S8_T1_T2_lS8_S8_lT3_lS8_S8_lS9_T4_lS8_S8_l.num_vgpr, 0
	.set _ZN9rocsolver6v33100L16mfma_gemm_kernelIdiPKdPKPdS4_S4_EEv18rocblas_operation_S7_T0_S8_S8_T1_T2_lS8_S8_lT3_lS8_S8_lS9_T4_lS8_S8_l.num_agpr, 0
	.set _ZN9rocsolver6v33100L16mfma_gemm_kernelIdiPKdPKPdS4_S4_EEv18rocblas_operation_S7_T0_S8_S8_T1_T2_lS8_S8_lT3_lS8_S8_lS9_T4_lS8_S8_l.numbered_sgpr, 0
	.set _ZN9rocsolver6v33100L16mfma_gemm_kernelIdiPKdPKPdS4_S4_EEv18rocblas_operation_S7_T0_S8_S8_T1_T2_lS8_S8_lT3_lS8_S8_lS9_T4_lS8_S8_l.num_named_barrier, 0
	.set _ZN9rocsolver6v33100L16mfma_gemm_kernelIdiPKdPKPdS4_S4_EEv18rocblas_operation_S7_T0_S8_S8_T1_T2_lS8_S8_lT3_lS8_S8_lS9_T4_lS8_S8_l.private_seg_size, 0
	.set _ZN9rocsolver6v33100L16mfma_gemm_kernelIdiPKdPKPdS4_S4_EEv18rocblas_operation_S7_T0_S8_S8_T1_T2_lS8_S8_lT3_lS8_S8_lS9_T4_lS8_S8_l.uses_vcc, 0
	.set _ZN9rocsolver6v33100L16mfma_gemm_kernelIdiPKdPKPdS4_S4_EEv18rocblas_operation_S7_T0_S8_S8_T1_T2_lS8_S8_lT3_lS8_S8_lS9_T4_lS8_S8_l.uses_flat_scratch, 0
	.set _ZN9rocsolver6v33100L16mfma_gemm_kernelIdiPKdPKPdS4_S4_EEv18rocblas_operation_S7_T0_S8_S8_T1_T2_lS8_S8_lT3_lS8_S8_lS9_T4_lS8_S8_l.has_dyn_sized_stack, 0
	.set _ZN9rocsolver6v33100L16mfma_gemm_kernelIdiPKdPKPdS4_S4_EEv18rocblas_operation_S7_T0_S8_S8_T1_T2_lS8_S8_lT3_lS8_S8_lS9_T4_lS8_S8_l.has_recursion, 0
	.set _ZN9rocsolver6v33100L16mfma_gemm_kernelIdiPKdPKPdS4_S4_EEv18rocblas_operation_S7_T0_S8_S8_T1_T2_lS8_S8_lT3_lS8_S8_lS9_T4_lS8_S8_l.has_indirect_call, 0
	.section	.AMDGPU.csdata,"",@progbits
; Kernel info:
; codeLenInByte = 4
; TotalNumSgprs: 4
; NumVgprs: 0
; ScratchSize: 0
; MemoryBound: 0
; FloatMode: 240
; IeeeMode: 1
; LDSByteSize: 0 bytes/workgroup (compile time only)
; SGPRBlocks: 0
; VGPRBlocks: 0
; NumSGPRsForWavesPerEU: 4
; NumVGPRsForWavesPerEU: 1
; Occupancy: 10
; WaveLimiterHint : 0
; COMPUTE_PGM_RSRC2:SCRATCH_EN: 0
; COMPUTE_PGM_RSRC2:USER_SGPR: 6
; COMPUTE_PGM_RSRC2:TRAP_HANDLER: 0
; COMPUTE_PGM_RSRC2:TGID_X_EN: 1
; COMPUTE_PGM_RSRC2:TGID_Y_EN: 0
; COMPUTE_PGM_RSRC2:TGID_Z_EN: 0
; COMPUTE_PGM_RSRC2:TIDIG_COMP_CNT: 0
	.section	.text._ZN9rocsolver6v33100L16mfma_gemm_kernelIdidPKPdS2_S2_EEv18rocblas_operation_S5_T0_S6_S6_T1_T2_lS6_S6_lT3_lS6_S6_lS7_T4_lS6_S6_l,"axG",@progbits,_ZN9rocsolver6v33100L16mfma_gemm_kernelIdidPKPdS2_S2_EEv18rocblas_operation_S5_T0_S6_S6_T1_T2_lS6_S6_lT3_lS6_S6_lS7_T4_lS6_S6_l,comdat
	.globl	_ZN9rocsolver6v33100L16mfma_gemm_kernelIdidPKPdS2_S2_EEv18rocblas_operation_S5_T0_S6_S6_T1_T2_lS6_S6_lT3_lS6_S6_lS7_T4_lS6_S6_l ; -- Begin function _ZN9rocsolver6v33100L16mfma_gemm_kernelIdidPKPdS2_S2_EEv18rocblas_operation_S5_T0_S6_S6_T1_T2_lS6_S6_lT3_lS6_S6_lS7_T4_lS6_S6_l
	.p2align	8
	.type	_ZN9rocsolver6v33100L16mfma_gemm_kernelIdidPKPdS2_S2_EEv18rocblas_operation_S5_T0_S6_S6_T1_T2_lS6_S6_lT3_lS6_S6_lS7_T4_lS6_S6_l,@function
_ZN9rocsolver6v33100L16mfma_gemm_kernelIdidPKPdS2_S2_EEv18rocblas_operation_S5_T0_S6_S6_T1_T2_lS6_S6_lT3_lS6_S6_lS7_T4_lS6_S6_l: ; @_ZN9rocsolver6v33100L16mfma_gemm_kernelIdidPKPdS2_S2_EEv18rocblas_operation_S5_T0_S6_S6_T1_T2_lS6_S6_lT3_lS6_S6_lS7_T4_lS6_S6_l
; %bb.0:
	s_endpgm
	.section	.rodata,"a",@progbits
	.p2align	6, 0x0
	.amdhsa_kernel _ZN9rocsolver6v33100L16mfma_gemm_kernelIdidPKPdS2_S2_EEv18rocblas_operation_S5_T0_S6_S6_T1_T2_lS6_S6_lT3_lS6_S6_lS7_T4_lS6_S6_l
		.amdhsa_group_segment_fixed_size 0
		.amdhsa_private_segment_fixed_size 0
		.amdhsa_kernarg_size 136
		.amdhsa_user_sgpr_count 6
		.amdhsa_user_sgpr_private_segment_buffer 1
		.amdhsa_user_sgpr_dispatch_ptr 0
		.amdhsa_user_sgpr_queue_ptr 0
		.amdhsa_user_sgpr_kernarg_segment_ptr 1
		.amdhsa_user_sgpr_dispatch_id 0
		.amdhsa_user_sgpr_flat_scratch_init 0
		.amdhsa_user_sgpr_private_segment_size 0
		.amdhsa_uses_dynamic_stack 0
		.amdhsa_system_sgpr_private_segment_wavefront_offset 0
		.amdhsa_system_sgpr_workgroup_id_x 1
		.amdhsa_system_sgpr_workgroup_id_y 0
		.amdhsa_system_sgpr_workgroup_id_z 0
		.amdhsa_system_sgpr_workgroup_info 0
		.amdhsa_system_vgpr_workitem_id 0
		.amdhsa_next_free_vgpr 1
		.amdhsa_next_free_sgpr 0
		.amdhsa_reserve_vcc 0
		.amdhsa_reserve_flat_scratch 0
		.amdhsa_float_round_mode_32 0
		.amdhsa_float_round_mode_16_64 0
		.amdhsa_float_denorm_mode_32 3
		.amdhsa_float_denorm_mode_16_64 3
		.amdhsa_dx10_clamp 1
		.amdhsa_ieee_mode 1
		.amdhsa_fp16_overflow 0
		.amdhsa_exception_fp_ieee_invalid_op 0
		.amdhsa_exception_fp_denorm_src 0
		.amdhsa_exception_fp_ieee_div_zero 0
		.amdhsa_exception_fp_ieee_overflow 0
		.amdhsa_exception_fp_ieee_underflow 0
		.amdhsa_exception_fp_ieee_inexact 0
		.amdhsa_exception_int_div_zero 0
	.end_amdhsa_kernel
	.section	.text._ZN9rocsolver6v33100L16mfma_gemm_kernelIdidPKPdS2_S2_EEv18rocblas_operation_S5_T0_S6_S6_T1_T2_lS6_S6_lT3_lS6_S6_lS7_T4_lS6_S6_l,"axG",@progbits,_ZN9rocsolver6v33100L16mfma_gemm_kernelIdidPKPdS2_S2_EEv18rocblas_operation_S5_T0_S6_S6_T1_T2_lS6_S6_lT3_lS6_S6_lS7_T4_lS6_S6_l,comdat
.Lfunc_end22:
	.size	_ZN9rocsolver6v33100L16mfma_gemm_kernelIdidPKPdS2_S2_EEv18rocblas_operation_S5_T0_S6_S6_T1_T2_lS6_S6_lT3_lS6_S6_lS7_T4_lS6_S6_l, .Lfunc_end22-_ZN9rocsolver6v33100L16mfma_gemm_kernelIdidPKPdS2_S2_EEv18rocblas_operation_S5_T0_S6_S6_T1_T2_lS6_S6_lT3_lS6_S6_lS7_T4_lS6_S6_l
                                        ; -- End function
	.set _ZN9rocsolver6v33100L16mfma_gemm_kernelIdidPKPdS2_S2_EEv18rocblas_operation_S5_T0_S6_S6_T1_T2_lS6_S6_lT3_lS6_S6_lS7_T4_lS6_S6_l.num_vgpr, 0
	.set _ZN9rocsolver6v33100L16mfma_gemm_kernelIdidPKPdS2_S2_EEv18rocblas_operation_S5_T0_S6_S6_T1_T2_lS6_S6_lT3_lS6_S6_lS7_T4_lS6_S6_l.num_agpr, 0
	.set _ZN9rocsolver6v33100L16mfma_gemm_kernelIdidPKPdS2_S2_EEv18rocblas_operation_S5_T0_S6_S6_T1_T2_lS6_S6_lT3_lS6_S6_lS7_T4_lS6_S6_l.numbered_sgpr, 0
	.set _ZN9rocsolver6v33100L16mfma_gemm_kernelIdidPKPdS2_S2_EEv18rocblas_operation_S5_T0_S6_S6_T1_T2_lS6_S6_lT3_lS6_S6_lS7_T4_lS6_S6_l.num_named_barrier, 0
	.set _ZN9rocsolver6v33100L16mfma_gemm_kernelIdidPKPdS2_S2_EEv18rocblas_operation_S5_T0_S6_S6_T1_T2_lS6_S6_lT3_lS6_S6_lS7_T4_lS6_S6_l.private_seg_size, 0
	.set _ZN9rocsolver6v33100L16mfma_gemm_kernelIdidPKPdS2_S2_EEv18rocblas_operation_S5_T0_S6_S6_T1_T2_lS6_S6_lT3_lS6_S6_lS7_T4_lS6_S6_l.uses_vcc, 0
	.set _ZN9rocsolver6v33100L16mfma_gemm_kernelIdidPKPdS2_S2_EEv18rocblas_operation_S5_T0_S6_S6_T1_T2_lS6_S6_lT3_lS6_S6_lS7_T4_lS6_S6_l.uses_flat_scratch, 0
	.set _ZN9rocsolver6v33100L16mfma_gemm_kernelIdidPKPdS2_S2_EEv18rocblas_operation_S5_T0_S6_S6_T1_T2_lS6_S6_lT3_lS6_S6_lS7_T4_lS6_S6_l.has_dyn_sized_stack, 0
	.set _ZN9rocsolver6v33100L16mfma_gemm_kernelIdidPKPdS2_S2_EEv18rocblas_operation_S5_T0_S6_S6_T1_T2_lS6_S6_lT3_lS6_S6_lS7_T4_lS6_S6_l.has_recursion, 0
	.set _ZN9rocsolver6v33100L16mfma_gemm_kernelIdidPKPdS2_S2_EEv18rocblas_operation_S5_T0_S6_S6_T1_T2_lS6_S6_lT3_lS6_S6_lS7_T4_lS6_S6_l.has_indirect_call, 0
	.section	.AMDGPU.csdata,"",@progbits
; Kernel info:
; codeLenInByte = 4
; TotalNumSgprs: 4
; NumVgprs: 0
; ScratchSize: 0
; MemoryBound: 0
; FloatMode: 240
; IeeeMode: 1
; LDSByteSize: 0 bytes/workgroup (compile time only)
; SGPRBlocks: 0
; VGPRBlocks: 0
; NumSGPRsForWavesPerEU: 4
; NumVGPRsForWavesPerEU: 1
; Occupancy: 10
; WaveLimiterHint : 0
; COMPUTE_PGM_RSRC2:SCRATCH_EN: 0
; COMPUTE_PGM_RSRC2:USER_SGPR: 6
; COMPUTE_PGM_RSRC2:TRAP_HANDLER: 0
; COMPUTE_PGM_RSRC2:TGID_X_EN: 1
; COMPUTE_PGM_RSRC2:TGID_Y_EN: 0
; COMPUTE_PGM_RSRC2:TGID_Z_EN: 0
; COMPUTE_PGM_RSRC2:TIDIG_COMP_CNT: 0
	.section	.text._ZN9rocsolver6v33100L11gemm_kernelIdiPKdPKPdS4_S4_EEvT0_S7_S7_T1_bT2_lS7_S7_lbT3_lS7_S7_lS8_T4_lS7_S7_l,"axG",@progbits,_ZN9rocsolver6v33100L11gemm_kernelIdiPKdPKPdS4_S4_EEvT0_S7_S7_T1_bT2_lS7_S7_lbT3_lS7_S7_lS8_T4_lS7_S7_l,comdat
	.globl	_ZN9rocsolver6v33100L11gemm_kernelIdiPKdPKPdS4_S4_EEvT0_S7_S7_T1_bT2_lS7_S7_lbT3_lS7_S7_lS8_T4_lS7_S7_l ; -- Begin function _ZN9rocsolver6v33100L11gemm_kernelIdiPKdPKPdS4_S4_EEvT0_S7_S7_T1_bT2_lS7_S7_lbT3_lS7_S7_lS8_T4_lS7_S7_l
	.p2align	8
	.type	_ZN9rocsolver6v33100L11gemm_kernelIdiPKdPKPdS4_S4_EEvT0_S7_S7_T1_bT2_lS7_S7_lbT3_lS7_S7_lS8_T4_lS7_S7_l,@function
_ZN9rocsolver6v33100L11gemm_kernelIdiPKdPKPdS4_S4_EEvT0_S7_S7_T1_bT2_lS7_S7_lbT3_lS7_S7_lS8_T4_lS7_S7_l: ; @_ZN9rocsolver6v33100L11gemm_kernelIdiPKdPKPdS4_S4_EEvT0_S7_S7_T1_bT2_lS7_S7_lbT3_lS7_S7_lS8_T4_lS7_S7_l
; %bb.0:
	s_load_dword s9, s[4:5], 0x9c
	s_load_dwordx4 s[0:3], s[4:5], 0x0
	s_waitcnt lgkmcnt(0)
	s_lshr_b32 s3, s9, 16
	s_and_b32 s9, s9, 0xffff
	s_mul_i32 s6, s6, s9
	s_mul_i32 s7, s7, s3
	v_add_u32_e32 v7, s6, v0
	v_add_u32_e32 v6, s7, v1
	v_cmp_gt_i32_e32 vcc, s0, v7
	v_cmp_gt_i32_e64 s[0:1], s1, v6
	s_and_b64 s[0:1], vcc, s[0:1]
	s_and_saveexec_b64 s[6:7], s[0:1]
	s_cbranch_execz .LBB23_6
; %bb.1:
	s_load_dwordx2 s[0:1], s[4:5], 0x10
	s_load_dwordx8 s[12:19], s[4:5], 0x60
	s_ashr_i32 s9, s8, 31
	s_cmp_lt_i32 s2, 1
	s_cbranch_scc1 .LBB23_4
; %bb.2:
	s_load_dwordx4 s[20:23], s[4:5], 0x20
	s_load_dwordx2 s[10:11], s[4:5], 0x30
	s_load_dwordx4 s[24:27], s[4:5], 0x48
	s_load_dwordx2 s[6:7], s[4:5], 0x58
	s_lshl_b64 s[28:29], s[8:9], 3
	s_waitcnt lgkmcnt(0)
	s_add_u32 s20, s20, s28
	s_mul_i32 s3, s12, s9
	s_addc_u32 s21, s21, s29
	v_mul_lo_u32 v1, v6, s7
	s_mul_hi_u32 s7, s12, s8
	s_add_i32 s3, s7, s3
	s_mul_i32 s7, s13, s8
	s_add_i32 s13, s3, s7
	s_mul_i32 s12, s12, s8
	s_lshl_b64 s[12:13], s[12:13], 3
	s_lshl_b64 s[26:27], s[26:27], 3
	s_add_u32 s3, s12, s26
	s_load_dwordx2 s[20:21], s[20:21], 0x0
	v_mul_lo_u32 v0, v7, s10
	s_addc_u32 s7, s13, s27
	v_ashrrev_i32_e32 v2, 31, v1
	v_lshlrev_b64 v[2:3], 3, v[1:2]
	s_add_u32 s3, s24, s3
	s_addc_u32 s7, s25, s7
	v_mov_b32_e32 v1, s7
	v_add_co_u32_e32 v2, vcc, s3, v2
	s_ashr_i32 s7, s6, 31
	v_addc_co_u32_e32 v3, vcc, v1, v3, vcc
	s_lshl_b64 s[6:7], s[6:7], 3
	s_lshl_b64 s[12:13], s[22:23], 3
	v_ashrrev_i32_e32 v1, 31, v0
	v_lshlrev_b64 v[0:1], 3, v[0:1]
	s_waitcnt lgkmcnt(0)
	s_add_u32 s3, s20, s12
	s_addc_u32 s10, s21, s13
	v_mov_b32_e32 v5, s10
	v_add_co_u32_e32 v4, vcc, s3, v0
	s_ashr_i32 s13, s11, 31
	s_mov_b32 s12, s11
	v_addc_co_u32_e32 v5, vcc, v5, v1, vcc
	s_lshl_b64 s[10:11], s[12:13], 3
	v_mov_b32_e32 v0, 0
	v_mov_b32_e32 v1, 0
	;; [unrolled: 1-line block ×4, first 2 shown]
.LBB23_3:                               ; =>This Inner Loop Header: Depth=1
	flat_load_dwordx2 v[10:11], v[4:5]
	global_load_dwordx2 v[12:13], v[2:3], off
	v_add_co_u32_e32 v2, vcc, s6, v2
	v_addc_co_u32_e32 v3, vcc, v3, v8, vcc
	v_add_co_u32_e32 v4, vcc, s10, v4
	s_add_i32 s2, s2, -1
	s_cmp_eq_u32 s2, 0
	v_addc_co_u32_e32 v5, vcc, v5, v9, vcc
	s_waitcnt vmcnt(0) lgkmcnt(0)
	v_fma_f64 v[0:1], v[10:11], v[12:13], v[0:1]
	s_cbranch_scc0 .LBB23_3
	s_branch .LBB23_5
.LBB23_4:
	v_mov_b32_e32 v0, 0
	v_mov_b32_e32 v1, 0
.LBB23_5:
	s_waitcnt lgkmcnt(0)
	s_load_dwordx2 s[2:3], s[0:1], 0x0
	s_load_dwordx2 s[6:7], s[14:15], 0x0
                                        ; kill: killed $sgpr0_sgpr1
                                        ; kill: killed $sgpr14_sgpr15
	s_nop 0
	s_load_dwordx4 s[12:15], s[4:5], 0x80
	s_waitcnt lgkmcnt(0)
	s_mul_i32 s1, s14, s9
	s_mul_hi_u32 s4, s14, s8
	s_mul_i32 s5, s15, s8
	v_mul_lo_u32 v2, v7, s12
	s_add_i32 s1, s4, s1
	s_mul_i32 s0, s14, s8
	s_add_i32 s1, s1, s5
	s_lshl_b64 s[0:1], s[0:1], 3
	s_add_u32 s4, s16, s0
	s_addc_u32 s5, s17, s1
	v_mad_u64_u32 v[2:3], s[0:1], v6, s13, v[2:3]
	s_lshl_b64 s[0:1], s[18:19], 3
	s_add_u32 s0, s4, s0
	v_ashrrev_i32_e32 v3, 31, v2
	v_lshlrev_b64 v[2:3], 3, v[2:3]
	s_addc_u32 s1, s5, s1
	v_mov_b32_e32 v4, s1
	v_add_co_u32_e32 v2, vcc, s0, v2
	v_addc_co_u32_e32 v3, vcc, v4, v3, vcc
	global_load_dwordx2 v[4:5], v[2:3], off
	s_waitcnt vmcnt(0)
	v_mul_f64 v[4:5], s[6:7], v[4:5]
	v_fma_f64 v[0:1], s[2:3], v[0:1], v[4:5]
	global_store_dwordx2 v[2:3], v[0:1], off
.LBB23_6:
	s_endpgm
	.section	.rodata,"a",@progbits
	.p2align	6, 0x0
	.amdhsa_kernel _ZN9rocsolver6v33100L11gemm_kernelIdiPKdPKPdS4_S4_EEvT0_S7_S7_T1_bT2_lS7_S7_lbT3_lS7_S7_lS8_T4_lS7_S7_l
		.amdhsa_group_segment_fixed_size 0
		.amdhsa_private_segment_fixed_size 0
		.amdhsa_kernarg_size 400
		.amdhsa_user_sgpr_count 6
		.amdhsa_user_sgpr_private_segment_buffer 1
		.amdhsa_user_sgpr_dispatch_ptr 0
		.amdhsa_user_sgpr_queue_ptr 0
		.amdhsa_user_sgpr_kernarg_segment_ptr 1
		.amdhsa_user_sgpr_dispatch_id 0
		.amdhsa_user_sgpr_flat_scratch_init 0
		.amdhsa_user_sgpr_private_segment_size 0
		.amdhsa_uses_dynamic_stack 0
		.amdhsa_system_sgpr_private_segment_wavefront_offset 0
		.amdhsa_system_sgpr_workgroup_id_x 1
		.amdhsa_system_sgpr_workgroup_id_y 1
		.amdhsa_system_sgpr_workgroup_id_z 1
		.amdhsa_system_sgpr_workgroup_info 0
		.amdhsa_system_vgpr_workitem_id 1
		.amdhsa_next_free_vgpr 14
		.amdhsa_next_free_sgpr 30
		.amdhsa_reserve_vcc 1
		.amdhsa_reserve_flat_scratch 0
		.amdhsa_float_round_mode_32 0
		.amdhsa_float_round_mode_16_64 0
		.amdhsa_float_denorm_mode_32 3
		.amdhsa_float_denorm_mode_16_64 3
		.amdhsa_dx10_clamp 1
		.amdhsa_ieee_mode 1
		.amdhsa_fp16_overflow 0
		.amdhsa_exception_fp_ieee_invalid_op 0
		.amdhsa_exception_fp_denorm_src 0
		.amdhsa_exception_fp_ieee_div_zero 0
		.amdhsa_exception_fp_ieee_overflow 0
		.amdhsa_exception_fp_ieee_underflow 0
		.amdhsa_exception_fp_ieee_inexact 0
		.amdhsa_exception_int_div_zero 0
	.end_amdhsa_kernel
	.section	.text._ZN9rocsolver6v33100L11gemm_kernelIdiPKdPKPdS4_S4_EEvT0_S7_S7_T1_bT2_lS7_S7_lbT3_lS7_S7_lS8_T4_lS7_S7_l,"axG",@progbits,_ZN9rocsolver6v33100L11gemm_kernelIdiPKdPKPdS4_S4_EEvT0_S7_S7_T1_bT2_lS7_S7_lbT3_lS7_S7_lS8_T4_lS7_S7_l,comdat
.Lfunc_end23:
	.size	_ZN9rocsolver6v33100L11gemm_kernelIdiPKdPKPdS4_S4_EEvT0_S7_S7_T1_bT2_lS7_S7_lbT3_lS7_S7_lS8_T4_lS7_S7_l, .Lfunc_end23-_ZN9rocsolver6v33100L11gemm_kernelIdiPKdPKPdS4_S4_EEvT0_S7_S7_T1_bT2_lS7_S7_lbT3_lS7_S7_lS8_T4_lS7_S7_l
                                        ; -- End function
	.set _ZN9rocsolver6v33100L11gemm_kernelIdiPKdPKPdS4_S4_EEvT0_S7_S7_T1_bT2_lS7_S7_lbT3_lS7_S7_lS8_T4_lS7_S7_l.num_vgpr, 14
	.set _ZN9rocsolver6v33100L11gemm_kernelIdiPKdPKPdS4_S4_EEvT0_S7_S7_T1_bT2_lS7_S7_lbT3_lS7_S7_lS8_T4_lS7_S7_l.num_agpr, 0
	.set _ZN9rocsolver6v33100L11gemm_kernelIdiPKdPKPdS4_S4_EEvT0_S7_S7_T1_bT2_lS7_S7_lbT3_lS7_S7_lS8_T4_lS7_S7_l.numbered_sgpr, 30
	.set _ZN9rocsolver6v33100L11gemm_kernelIdiPKdPKPdS4_S4_EEvT0_S7_S7_T1_bT2_lS7_S7_lbT3_lS7_S7_lS8_T4_lS7_S7_l.num_named_barrier, 0
	.set _ZN9rocsolver6v33100L11gemm_kernelIdiPKdPKPdS4_S4_EEvT0_S7_S7_T1_bT2_lS7_S7_lbT3_lS7_S7_lS8_T4_lS7_S7_l.private_seg_size, 0
	.set _ZN9rocsolver6v33100L11gemm_kernelIdiPKdPKPdS4_S4_EEvT0_S7_S7_T1_bT2_lS7_S7_lbT3_lS7_S7_lS8_T4_lS7_S7_l.uses_vcc, 1
	.set _ZN9rocsolver6v33100L11gemm_kernelIdiPKdPKPdS4_S4_EEvT0_S7_S7_T1_bT2_lS7_S7_lbT3_lS7_S7_lS8_T4_lS7_S7_l.uses_flat_scratch, 0
	.set _ZN9rocsolver6v33100L11gemm_kernelIdiPKdPKPdS4_S4_EEvT0_S7_S7_T1_bT2_lS7_S7_lbT3_lS7_S7_lS8_T4_lS7_S7_l.has_dyn_sized_stack, 0
	.set _ZN9rocsolver6v33100L11gemm_kernelIdiPKdPKPdS4_S4_EEvT0_S7_S7_T1_bT2_lS7_S7_lbT3_lS7_S7_lS8_T4_lS7_S7_l.has_recursion, 0
	.set _ZN9rocsolver6v33100L11gemm_kernelIdiPKdPKPdS4_S4_EEvT0_S7_S7_T1_bT2_lS7_S7_lbT3_lS7_S7_lS8_T4_lS7_S7_l.has_indirect_call, 0
	.section	.AMDGPU.csdata,"",@progbits
; Kernel info:
; codeLenInByte = 552
; TotalNumSgprs: 34
; NumVgprs: 14
; ScratchSize: 0
; MemoryBound: 0
; FloatMode: 240
; IeeeMode: 1
; LDSByteSize: 0 bytes/workgroup (compile time only)
; SGPRBlocks: 4
; VGPRBlocks: 3
; NumSGPRsForWavesPerEU: 34
; NumVGPRsForWavesPerEU: 14
; Occupancy: 10
; WaveLimiterHint : 1
; COMPUTE_PGM_RSRC2:SCRATCH_EN: 0
; COMPUTE_PGM_RSRC2:USER_SGPR: 6
; COMPUTE_PGM_RSRC2:TRAP_HANDLER: 0
; COMPUTE_PGM_RSRC2:TGID_X_EN: 1
; COMPUTE_PGM_RSRC2:TGID_Y_EN: 1
; COMPUTE_PGM_RSRC2:TGID_Z_EN: 1
; COMPUTE_PGM_RSRC2:TIDIG_COMP_CNT: 1
	.section	.text._ZN9rocsolver6v33100L11gemm_kernelIdidPKPdS2_S2_EEvT0_S5_S5_T1_bT2_lS5_S5_lbT3_lS5_S5_lS6_T4_lS5_S5_l,"axG",@progbits,_ZN9rocsolver6v33100L11gemm_kernelIdidPKPdS2_S2_EEvT0_S5_S5_T1_bT2_lS5_S5_lbT3_lS5_S5_lS6_T4_lS5_S5_l,comdat
	.globl	_ZN9rocsolver6v33100L11gemm_kernelIdidPKPdS2_S2_EEvT0_S5_S5_T1_bT2_lS5_S5_lbT3_lS5_S5_lS6_T4_lS5_S5_l ; -- Begin function _ZN9rocsolver6v33100L11gemm_kernelIdidPKPdS2_S2_EEvT0_S5_S5_T1_bT2_lS5_S5_lbT3_lS5_S5_lS6_T4_lS5_S5_l
	.p2align	8
	.type	_ZN9rocsolver6v33100L11gemm_kernelIdidPKPdS2_S2_EEvT0_S5_S5_T1_bT2_lS5_S5_lbT3_lS5_S5_lS6_T4_lS5_S5_l,@function
_ZN9rocsolver6v33100L11gemm_kernelIdidPKPdS2_S2_EEvT0_S5_S5_T1_bT2_lS5_S5_lbT3_lS5_S5_lS6_T4_lS5_S5_l: ; @_ZN9rocsolver6v33100L11gemm_kernelIdidPKPdS2_S2_EEvT0_S5_S5_T1_bT2_lS5_S5_lbT3_lS5_S5_lS6_T4_lS5_S5_l
; %bb.0:
	s_load_dword s9, s[4:5], 0x9c
	s_load_dwordx4 s[0:3], s[4:5], 0x0
	s_waitcnt lgkmcnt(0)
	s_lshr_b32 s3, s9, 16
	s_and_b32 s9, s9, 0xffff
	s_mul_i32 s6, s6, s9
	s_mul_i32 s7, s7, s3
	v_add_u32_e32 v7, s6, v0
	v_add_u32_e32 v6, s7, v1
	v_cmp_gt_i32_e32 vcc, s0, v7
	v_cmp_gt_i32_e64 s[0:1], s1, v6
	s_and_b64 s[0:1], vcc, s[0:1]
	s_and_saveexec_b64 s[6:7], s[0:1]
	s_cbranch_execz .LBB24_6
; %bb.1:
	s_load_dwordx8 s[12:19], s[4:5], 0x60
	s_ashr_i32 s9, s8, 31
	s_cmp_lt_i32 s2, 1
	s_cbranch_scc1 .LBB24_4
; %bb.2:
	s_load_dwordx4 s[20:23], s[4:5], 0x20
	s_load_dwordx2 s[6:7], s[4:5], 0x30
	s_load_dwordx4 s[24:27], s[4:5], 0x48
	s_load_dwordx2 s[0:1], s[4:5], 0x58
	s_lshl_b64 s[10:11], s[8:9], 3
	s_waitcnt lgkmcnt(0)
	s_add_u32 s10, s20, s10
	s_mul_hi_u32 s3, s12, s8
	s_addc_u32 s11, s21, s11
	v_mul_lo_u32 v1, v6, s1
	s_mul_i32 s1, s12, s9
	s_add_i32 s1, s3, s1
	s_mul_i32 s3, s13, s8
	s_add_i32 s13, s1, s3
	s_mul_i32 s12, s12, s8
	s_lshl_b64 s[12:13], s[12:13], 3
	s_lshl_b64 s[20:21], s[26:27], 3
	s_add_u32 s1, s12, s20
	s_load_dwordx2 s[10:11], s[10:11], 0x0
	v_mul_lo_u32 v0, v7, s6
	s_addc_u32 s3, s13, s21
	v_ashrrev_i32_e32 v2, 31, v1
	v_lshlrev_b64 v[2:3], 3, v[1:2]
	s_add_u32 s1, s24, s1
	s_addc_u32 s3, s25, s3
	v_mov_b32_e32 v1, s3
	v_add_co_u32_e32 v2, vcc, s1, v2
	s_ashr_i32 s1, s0, 31
	v_addc_co_u32_e32 v3, vcc, v1, v3, vcc
	s_lshl_b64 s[0:1], s[0:1], 3
	s_lshl_b64 s[12:13], s[22:23], 3
	v_ashrrev_i32_e32 v1, 31, v0
	v_lshlrev_b64 v[0:1], 3, v[0:1]
	s_waitcnt lgkmcnt(0)
	s_add_u32 s3, s10, s12
	s_addc_u32 s6, s11, s13
	v_mov_b32_e32 v5, s6
	v_add_co_u32_e32 v4, vcc, s3, v0
	s_ashr_i32 s11, s7, 31
	s_mov_b32 s10, s7
	v_addc_co_u32_e32 v5, vcc, v5, v1, vcc
	s_lshl_b64 s[6:7], s[10:11], 3
	v_mov_b32_e32 v0, 0
	v_mov_b32_e32 v1, 0
	;; [unrolled: 1-line block ×4, first 2 shown]
.LBB24_3:                               ; =>This Inner Loop Header: Depth=1
	flat_load_dwordx2 v[10:11], v[4:5]
	global_load_dwordx2 v[12:13], v[2:3], off
	v_add_co_u32_e32 v2, vcc, s0, v2
	v_addc_co_u32_e32 v3, vcc, v3, v8, vcc
	v_add_co_u32_e32 v4, vcc, s6, v4
	s_add_i32 s2, s2, -1
	s_cmp_eq_u32 s2, 0
	v_addc_co_u32_e32 v5, vcc, v5, v9, vcc
	s_waitcnt vmcnt(0) lgkmcnt(0)
	v_fma_f64 v[0:1], v[10:11], v[12:13], v[0:1]
	s_cbranch_scc0 .LBB24_3
	s_branch .LBB24_5
.LBB24_4:
	v_mov_b32_e32 v0, 0
	v_mov_b32_e32 v1, 0
.LBB24_5:
	s_load_dwordx4 s[0:3], s[4:5], 0x80
	s_waitcnt lgkmcnt(0)
	v_mul_lo_u32 v2, v7, s0
	s_mul_i32 s6, s2, s9
	s_mul_hi_u32 s7, s2, s8
	s_mul_i32 s3, s3, s8
	s_add_i32 s0, s7, s6
	s_add_i32 s3, s0, s3
	v_mad_u64_u32 v[2:3], s[0:1], v6, s1, v[2:3]
	s_mul_i32 s2, s2, s8
	s_lshl_b64 s[2:3], s[2:3], 3
	s_add_u32 s2, s16, s2
	s_addc_u32 s3, s17, s3
	s_lshl_b64 s[0:1], s[18:19], 3
	v_ashrrev_i32_e32 v3, 31, v2
	s_add_u32 s0, s2, s0
	v_lshlrev_b64 v[2:3], 3, v[2:3]
	s_addc_u32 s1, s3, s1
	v_mov_b32_e32 v4, s1
	v_add_co_u32_e32 v2, vcc, s0, v2
	v_addc_co_u32_e32 v3, vcc, v4, v3, vcc
	global_load_dwordx2 v[4:5], v[2:3], off
	s_load_dwordx2 s[0:1], s[4:5], 0x10
	s_waitcnt vmcnt(0)
	v_mul_f64 v[4:5], s[14:15], v[4:5]
	s_waitcnt lgkmcnt(0)
	v_fma_f64 v[0:1], s[0:1], v[0:1], v[4:5]
	global_store_dwordx2 v[2:3], v[0:1], off
.LBB24_6:
	s_endpgm
	.section	.rodata,"a",@progbits
	.p2align	6, 0x0
	.amdhsa_kernel _ZN9rocsolver6v33100L11gemm_kernelIdidPKPdS2_S2_EEvT0_S5_S5_T1_bT2_lS5_S5_lbT3_lS5_S5_lS6_T4_lS5_S5_l
		.amdhsa_group_segment_fixed_size 0
		.amdhsa_private_segment_fixed_size 0
		.amdhsa_kernarg_size 400
		.amdhsa_user_sgpr_count 6
		.amdhsa_user_sgpr_private_segment_buffer 1
		.amdhsa_user_sgpr_dispatch_ptr 0
		.amdhsa_user_sgpr_queue_ptr 0
		.amdhsa_user_sgpr_kernarg_segment_ptr 1
		.amdhsa_user_sgpr_dispatch_id 0
		.amdhsa_user_sgpr_flat_scratch_init 0
		.amdhsa_user_sgpr_private_segment_size 0
		.amdhsa_uses_dynamic_stack 0
		.amdhsa_system_sgpr_private_segment_wavefront_offset 0
		.amdhsa_system_sgpr_workgroup_id_x 1
		.amdhsa_system_sgpr_workgroup_id_y 1
		.amdhsa_system_sgpr_workgroup_id_z 1
		.amdhsa_system_sgpr_workgroup_info 0
		.amdhsa_system_vgpr_workitem_id 1
		.amdhsa_next_free_vgpr 14
		.amdhsa_next_free_sgpr 28
		.amdhsa_reserve_vcc 1
		.amdhsa_reserve_flat_scratch 0
		.amdhsa_float_round_mode_32 0
		.amdhsa_float_round_mode_16_64 0
		.amdhsa_float_denorm_mode_32 3
		.amdhsa_float_denorm_mode_16_64 3
		.amdhsa_dx10_clamp 1
		.amdhsa_ieee_mode 1
		.amdhsa_fp16_overflow 0
		.amdhsa_exception_fp_ieee_invalid_op 0
		.amdhsa_exception_fp_denorm_src 0
		.amdhsa_exception_fp_ieee_div_zero 0
		.amdhsa_exception_fp_ieee_overflow 0
		.amdhsa_exception_fp_ieee_underflow 0
		.amdhsa_exception_fp_ieee_inexact 0
		.amdhsa_exception_int_div_zero 0
	.end_amdhsa_kernel
	.section	.text._ZN9rocsolver6v33100L11gemm_kernelIdidPKPdS2_S2_EEvT0_S5_S5_T1_bT2_lS5_S5_lbT3_lS5_S5_lS6_T4_lS5_S5_l,"axG",@progbits,_ZN9rocsolver6v33100L11gemm_kernelIdidPKPdS2_S2_EEvT0_S5_S5_T1_bT2_lS5_S5_lbT3_lS5_S5_lS6_T4_lS5_S5_l,comdat
.Lfunc_end24:
	.size	_ZN9rocsolver6v33100L11gemm_kernelIdidPKPdS2_S2_EEvT0_S5_S5_T1_bT2_lS5_S5_lbT3_lS5_S5_lS6_T4_lS5_S5_l, .Lfunc_end24-_ZN9rocsolver6v33100L11gemm_kernelIdidPKPdS2_S2_EEvT0_S5_S5_T1_bT2_lS5_S5_lbT3_lS5_S5_lS6_T4_lS5_S5_l
                                        ; -- End function
	.set _ZN9rocsolver6v33100L11gemm_kernelIdidPKPdS2_S2_EEvT0_S5_S5_T1_bT2_lS5_S5_lbT3_lS5_S5_lS6_T4_lS5_S5_l.num_vgpr, 14
	.set _ZN9rocsolver6v33100L11gemm_kernelIdidPKPdS2_S2_EEvT0_S5_S5_T1_bT2_lS5_S5_lbT3_lS5_S5_lS6_T4_lS5_S5_l.num_agpr, 0
	.set _ZN9rocsolver6v33100L11gemm_kernelIdidPKPdS2_S2_EEvT0_S5_S5_T1_bT2_lS5_S5_lbT3_lS5_S5_lS6_T4_lS5_S5_l.numbered_sgpr, 28
	.set _ZN9rocsolver6v33100L11gemm_kernelIdidPKPdS2_S2_EEvT0_S5_S5_T1_bT2_lS5_S5_lbT3_lS5_S5_lS6_T4_lS5_S5_l.num_named_barrier, 0
	.set _ZN9rocsolver6v33100L11gemm_kernelIdidPKPdS2_S2_EEvT0_S5_S5_T1_bT2_lS5_S5_lbT3_lS5_S5_lS6_T4_lS5_S5_l.private_seg_size, 0
	.set _ZN9rocsolver6v33100L11gemm_kernelIdidPKPdS2_S2_EEvT0_S5_S5_T1_bT2_lS5_S5_lbT3_lS5_S5_lS6_T4_lS5_S5_l.uses_vcc, 1
	.set _ZN9rocsolver6v33100L11gemm_kernelIdidPKPdS2_S2_EEvT0_S5_S5_T1_bT2_lS5_S5_lbT3_lS5_S5_lS6_T4_lS5_S5_l.uses_flat_scratch, 0
	.set _ZN9rocsolver6v33100L11gemm_kernelIdidPKPdS2_S2_EEvT0_S5_S5_T1_bT2_lS5_S5_lbT3_lS5_S5_lS6_T4_lS5_S5_l.has_dyn_sized_stack, 0
	.set _ZN9rocsolver6v33100L11gemm_kernelIdidPKPdS2_S2_EEvT0_S5_S5_T1_bT2_lS5_S5_lbT3_lS5_S5_lS6_T4_lS5_S5_l.has_recursion, 0
	.set _ZN9rocsolver6v33100L11gemm_kernelIdidPKPdS2_S2_EEvT0_S5_S5_T1_bT2_lS5_S5_lbT3_lS5_S5_lS6_T4_lS5_S5_l.has_indirect_call, 0
	.section	.AMDGPU.csdata,"",@progbits
; Kernel info:
; codeLenInByte = 532
; TotalNumSgprs: 32
; NumVgprs: 14
; ScratchSize: 0
; MemoryBound: 0
; FloatMode: 240
; IeeeMode: 1
; LDSByteSize: 0 bytes/workgroup (compile time only)
; SGPRBlocks: 3
; VGPRBlocks: 3
; NumSGPRsForWavesPerEU: 32
; NumVGPRsForWavesPerEU: 14
; Occupancy: 10
; WaveLimiterHint : 1
; COMPUTE_PGM_RSRC2:SCRATCH_EN: 0
; COMPUTE_PGM_RSRC2:USER_SGPR: 6
; COMPUTE_PGM_RSRC2:TRAP_HANDLER: 0
; COMPUTE_PGM_RSRC2:TGID_X_EN: 1
; COMPUTE_PGM_RSRC2:TGID_Y_EN: 1
; COMPUTE_PGM_RSRC2:TGID_Z_EN: 1
; COMPUTE_PGM_RSRC2:TIDIG_COMP_CNT: 1
	.section	.text._ZN9rocsolver6v33100L16mfma_gemm_kernelIdiPKdPdPKS4_S4_EEv18rocblas_operation_S7_T0_S8_S8_T1_T2_lS8_S8_lT3_lS8_S8_lS9_T4_lS8_S8_l,"axG",@progbits,_ZN9rocsolver6v33100L16mfma_gemm_kernelIdiPKdPdPKS4_S4_EEv18rocblas_operation_S7_T0_S8_S8_T1_T2_lS8_S8_lT3_lS8_S8_lS9_T4_lS8_S8_l,comdat
	.globl	_ZN9rocsolver6v33100L16mfma_gemm_kernelIdiPKdPdPKS4_S4_EEv18rocblas_operation_S7_T0_S8_S8_T1_T2_lS8_S8_lT3_lS8_S8_lS9_T4_lS8_S8_l ; -- Begin function _ZN9rocsolver6v33100L16mfma_gemm_kernelIdiPKdPdPKS4_S4_EEv18rocblas_operation_S7_T0_S8_S8_T1_T2_lS8_S8_lT3_lS8_S8_lS9_T4_lS8_S8_l
	.p2align	8
	.type	_ZN9rocsolver6v33100L16mfma_gemm_kernelIdiPKdPdPKS4_S4_EEv18rocblas_operation_S7_T0_S8_S8_T1_T2_lS8_S8_lT3_lS8_S8_lS9_T4_lS8_S8_l,@function
_ZN9rocsolver6v33100L16mfma_gemm_kernelIdiPKdPdPKS4_S4_EEv18rocblas_operation_S7_T0_S8_S8_T1_T2_lS8_S8_lT3_lS8_S8_lS9_T4_lS8_S8_l: ; @_ZN9rocsolver6v33100L16mfma_gemm_kernelIdiPKdPdPKS4_S4_EEv18rocblas_operation_S7_T0_S8_S8_T1_T2_lS8_S8_lT3_lS8_S8_lS9_T4_lS8_S8_l
; %bb.0:
	s_endpgm
	.section	.rodata,"a",@progbits
	.p2align	6, 0x0
	.amdhsa_kernel _ZN9rocsolver6v33100L16mfma_gemm_kernelIdiPKdPdPKS4_S4_EEv18rocblas_operation_S7_T0_S8_S8_T1_T2_lS8_S8_lT3_lS8_S8_lS9_T4_lS8_S8_l
		.amdhsa_group_segment_fixed_size 0
		.amdhsa_private_segment_fixed_size 0
		.amdhsa_kernarg_size 136
		.amdhsa_user_sgpr_count 6
		.amdhsa_user_sgpr_private_segment_buffer 1
		.amdhsa_user_sgpr_dispatch_ptr 0
		.amdhsa_user_sgpr_queue_ptr 0
		.amdhsa_user_sgpr_kernarg_segment_ptr 1
		.amdhsa_user_sgpr_dispatch_id 0
		.amdhsa_user_sgpr_flat_scratch_init 0
		.amdhsa_user_sgpr_private_segment_size 0
		.amdhsa_uses_dynamic_stack 0
		.amdhsa_system_sgpr_private_segment_wavefront_offset 0
		.amdhsa_system_sgpr_workgroup_id_x 1
		.amdhsa_system_sgpr_workgroup_id_y 0
		.amdhsa_system_sgpr_workgroup_id_z 0
		.amdhsa_system_sgpr_workgroup_info 0
		.amdhsa_system_vgpr_workitem_id 0
		.amdhsa_next_free_vgpr 1
		.amdhsa_next_free_sgpr 0
		.amdhsa_reserve_vcc 0
		.amdhsa_reserve_flat_scratch 0
		.amdhsa_float_round_mode_32 0
		.amdhsa_float_round_mode_16_64 0
		.amdhsa_float_denorm_mode_32 3
		.amdhsa_float_denorm_mode_16_64 3
		.amdhsa_dx10_clamp 1
		.amdhsa_ieee_mode 1
		.amdhsa_fp16_overflow 0
		.amdhsa_exception_fp_ieee_invalid_op 0
		.amdhsa_exception_fp_denorm_src 0
		.amdhsa_exception_fp_ieee_div_zero 0
		.amdhsa_exception_fp_ieee_overflow 0
		.amdhsa_exception_fp_ieee_underflow 0
		.amdhsa_exception_fp_ieee_inexact 0
		.amdhsa_exception_int_div_zero 0
	.end_amdhsa_kernel
	.section	.text._ZN9rocsolver6v33100L16mfma_gemm_kernelIdiPKdPdPKS4_S4_EEv18rocblas_operation_S7_T0_S8_S8_T1_T2_lS8_S8_lT3_lS8_S8_lS9_T4_lS8_S8_l,"axG",@progbits,_ZN9rocsolver6v33100L16mfma_gemm_kernelIdiPKdPdPKS4_S4_EEv18rocblas_operation_S7_T0_S8_S8_T1_T2_lS8_S8_lT3_lS8_S8_lS9_T4_lS8_S8_l,comdat
.Lfunc_end25:
	.size	_ZN9rocsolver6v33100L16mfma_gemm_kernelIdiPKdPdPKS4_S4_EEv18rocblas_operation_S7_T0_S8_S8_T1_T2_lS8_S8_lT3_lS8_S8_lS9_T4_lS8_S8_l, .Lfunc_end25-_ZN9rocsolver6v33100L16mfma_gemm_kernelIdiPKdPdPKS4_S4_EEv18rocblas_operation_S7_T0_S8_S8_T1_T2_lS8_S8_lT3_lS8_S8_lS9_T4_lS8_S8_l
                                        ; -- End function
	.set _ZN9rocsolver6v33100L16mfma_gemm_kernelIdiPKdPdPKS4_S4_EEv18rocblas_operation_S7_T0_S8_S8_T1_T2_lS8_S8_lT3_lS8_S8_lS9_T4_lS8_S8_l.num_vgpr, 0
	.set _ZN9rocsolver6v33100L16mfma_gemm_kernelIdiPKdPdPKS4_S4_EEv18rocblas_operation_S7_T0_S8_S8_T1_T2_lS8_S8_lT3_lS8_S8_lS9_T4_lS8_S8_l.num_agpr, 0
	.set _ZN9rocsolver6v33100L16mfma_gemm_kernelIdiPKdPdPKS4_S4_EEv18rocblas_operation_S7_T0_S8_S8_T1_T2_lS8_S8_lT3_lS8_S8_lS9_T4_lS8_S8_l.numbered_sgpr, 0
	.set _ZN9rocsolver6v33100L16mfma_gemm_kernelIdiPKdPdPKS4_S4_EEv18rocblas_operation_S7_T0_S8_S8_T1_T2_lS8_S8_lT3_lS8_S8_lS9_T4_lS8_S8_l.num_named_barrier, 0
	.set _ZN9rocsolver6v33100L16mfma_gemm_kernelIdiPKdPdPKS4_S4_EEv18rocblas_operation_S7_T0_S8_S8_T1_T2_lS8_S8_lT3_lS8_S8_lS9_T4_lS8_S8_l.private_seg_size, 0
	.set _ZN9rocsolver6v33100L16mfma_gemm_kernelIdiPKdPdPKS4_S4_EEv18rocblas_operation_S7_T0_S8_S8_T1_T2_lS8_S8_lT3_lS8_S8_lS9_T4_lS8_S8_l.uses_vcc, 0
	.set _ZN9rocsolver6v33100L16mfma_gemm_kernelIdiPKdPdPKS4_S4_EEv18rocblas_operation_S7_T0_S8_S8_T1_T2_lS8_S8_lT3_lS8_S8_lS9_T4_lS8_S8_l.uses_flat_scratch, 0
	.set _ZN9rocsolver6v33100L16mfma_gemm_kernelIdiPKdPdPKS4_S4_EEv18rocblas_operation_S7_T0_S8_S8_T1_T2_lS8_S8_lT3_lS8_S8_lS9_T4_lS8_S8_l.has_dyn_sized_stack, 0
	.set _ZN9rocsolver6v33100L16mfma_gemm_kernelIdiPKdPdPKS4_S4_EEv18rocblas_operation_S7_T0_S8_S8_T1_T2_lS8_S8_lT3_lS8_S8_lS9_T4_lS8_S8_l.has_recursion, 0
	.set _ZN9rocsolver6v33100L16mfma_gemm_kernelIdiPKdPdPKS4_S4_EEv18rocblas_operation_S7_T0_S8_S8_T1_T2_lS8_S8_lT3_lS8_S8_lS9_T4_lS8_S8_l.has_indirect_call, 0
	.section	.AMDGPU.csdata,"",@progbits
; Kernel info:
; codeLenInByte = 4
; TotalNumSgprs: 4
; NumVgprs: 0
; ScratchSize: 0
; MemoryBound: 0
; FloatMode: 240
; IeeeMode: 1
; LDSByteSize: 0 bytes/workgroup (compile time only)
; SGPRBlocks: 0
; VGPRBlocks: 0
; NumSGPRsForWavesPerEU: 4
; NumVGPRsForWavesPerEU: 1
; Occupancy: 10
; WaveLimiterHint : 0
; COMPUTE_PGM_RSRC2:SCRATCH_EN: 0
; COMPUTE_PGM_RSRC2:USER_SGPR: 6
; COMPUTE_PGM_RSRC2:TRAP_HANDLER: 0
; COMPUTE_PGM_RSRC2:TGID_X_EN: 1
; COMPUTE_PGM_RSRC2:TGID_Y_EN: 0
; COMPUTE_PGM_RSRC2:TGID_Z_EN: 0
; COMPUTE_PGM_RSRC2:TIDIG_COMP_CNT: 0
	.section	.text._ZN9rocsolver6v33100L16mfma_gemm_kernelIdidPdPKS2_S2_EEv18rocblas_operation_S5_T0_S6_S6_T1_T2_lS6_S6_lT3_lS6_S6_lS7_T4_lS6_S6_l,"axG",@progbits,_ZN9rocsolver6v33100L16mfma_gemm_kernelIdidPdPKS2_S2_EEv18rocblas_operation_S5_T0_S6_S6_T1_T2_lS6_S6_lT3_lS6_S6_lS7_T4_lS6_S6_l,comdat
	.globl	_ZN9rocsolver6v33100L16mfma_gemm_kernelIdidPdPKS2_S2_EEv18rocblas_operation_S5_T0_S6_S6_T1_T2_lS6_S6_lT3_lS6_S6_lS7_T4_lS6_S6_l ; -- Begin function _ZN9rocsolver6v33100L16mfma_gemm_kernelIdidPdPKS2_S2_EEv18rocblas_operation_S5_T0_S6_S6_T1_T2_lS6_S6_lT3_lS6_S6_lS7_T4_lS6_S6_l
	.p2align	8
	.type	_ZN9rocsolver6v33100L16mfma_gemm_kernelIdidPdPKS2_S2_EEv18rocblas_operation_S5_T0_S6_S6_T1_T2_lS6_S6_lT3_lS6_S6_lS7_T4_lS6_S6_l,@function
_ZN9rocsolver6v33100L16mfma_gemm_kernelIdidPdPKS2_S2_EEv18rocblas_operation_S5_T0_S6_S6_T1_T2_lS6_S6_lT3_lS6_S6_lS7_T4_lS6_S6_l: ; @_ZN9rocsolver6v33100L16mfma_gemm_kernelIdidPdPKS2_S2_EEv18rocblas_operation_S5_T0_S6_S6_T1_T2_lS6_S6_lT3_lS6_S6_lS7_T4_lS6_S6_l
; %bb.0:
	s_endpgm
	.section	.rodata,"a",@progbits
	.p2align	6, 0x0
	.amdhsa_kernel _ZN9rocsolver6v33100L16mfma_gemm_kernelIdidPdPKS2_S2_EEv18rocblas_operation_S5_T0_S6_S6_T1_T2_lS6_S6_lT3_lS6_S6_lS7_T4_lS6_S6_l
		.amdhsa_group_segment_fixed_size 0
		.amdhsa_private_segment_fixed_size 0
		.amdhsa_kernarg_size 136
		.amdhsa_user_sgpr_count 6
		.amdhsa_user_sgpr_private_segment_buffer 1
		.amdhsa_user_sgpr_dispatch_ptr 0
		.amdhsa_user_sgpr_queue_ptr 0
		.amdhsa_user_sgpr_kernarg_segment_ptr 1
		.amdhsa_user_sgpr_dispatch_id 0
		.amdhsa_user_sgpr_flat_scratch_init 0
		.amdhsa_user_sgpr_private_segment_size 0
		.amdhsa_uses_dynamic_stack 0
		.amdhsa_system_sgpr_private_segment_wavefront_offset 0
		.amdhsa_system_sgpr_workgroup_id_x 1
		.amdhsa_system_sgpr_workgroup_id_y 0
		.amdhsa_system_sgpr_workgroup_id_z 0
		.amdhsa_system_sgpr_workgroup_info 0
		.amdhsa_system_vgpr_workitem_id 0
		.amdhsa_next_free_vgpr 1
		.amdhsa_next_free_sgpr 0
		.amdhsa_reserve_vcc 0
		.amdhsa_reserve_flat_scratch 0
		.amdhsa_float_round_mode_32 0
		.amdhsa_float_round_mode_16_64 0
		.amdhsa_float_denorm_mode_32 3
		.amdhsa_float_denorm_mode_16_64 3
		.amdhsa_dx10_clamp 1
		.amdhsa_ieee_mode 1
		.amdhsa_fp16_overflow 0
		.amdhsa_exception_fp_ieee_invalid_op 0
		.amdhsa_exception_fp_denorm_src 0
		.amdhsa_exception_fp_ieee_div_zero 0
		.amdhsa_exception_fp_ieee_overflow 0
		.amdhsa_exception_fp_ieee_underflow 0
		.amdhsa_exception_fp_ieee_inexact 0
		.amdhsa_exception_int_div_zero 0
	.end_amdhsa_kernel
	.section	.text._ZN9rocsolver6v33100L16mfma_gemm_kernelIdidPdPKS2_S2_EEv18rocblas_operation_S5_T0_S6_S6_T1_T2_lS6_S6_lT3_lS6_S6_lS7_T4_lS6_S6_l,"axG",@progbits,_ZN9rocsolver6v33100L16mfma_gemm_kernelIdidPdPKS2_S2_EEv18rocblas_operation_S5_T0_S6_S6_T1_T2_lS6_S6_lT3_lS6_S6_lS7_T4_lS6_S6_l,comdat
.Lfunc_end26:
	.size	_ZN9rocsolver6v33100L16mfma_gemm_kernelIdidPdPKS2_S2_EEv18rocblas_operation_S5_T0_S6_S6_T1_T2_lS6_S6_lT3_lS6_S6_lS7_T4_lS6_S6_l, .Lfunc_end26-_ZN9rocsolver6v33100L16mfma_gemm_kernelIdidPdPKS2_S2_EEv18rocblas_operation_S5_T0_S6_S6_T1_T2_lS6_S6_lT3_lS6_S6_lS7_T4_lS6_S6_l
                                        ; -- End function
	.set _ZN9rocsolver6v33100L16mfma_gemm_kernelIdidPdPKS2_S2_EEv18rocblas_operation_S5_T0_S6_S6_T1_T2_lS6_S6_lT3_lS6_S6_lS7_T4_lS6_S6_l.num_vgpr, 0
	.set _ZN9rocsolver6v33100L16mfma_gemm_kernelIdidPdPKS2_S2_EEv18rocblas_operation_S5_T0_S6_S6_T1_T2_lS6_S6_lT3_lS6_S6_lS7_T4_lS6_S6_l.num_agpr, 0
	.set _ZN9rocsolver6v33100L16mfma_gemm_kernelIdidPdPKS2_S2_EEv18rocblas_operation_S5_T0_S6_S6_T1_T2_lS6_S6_lT3_lS6_S6_lS7_T4_lS6_S6_l.numbered_sgpr, 0
	.set _ZN9rocsolver6v33100L16mfma_gemm_kernelIdidPdPKS2_S2_EEv18rocblas_operation_S5_T0_S6_S6_T1_T2_lS6_S6_lT3_lS6_S6_lS7_T4_lS6_S6_l.num_named_barrier, 0
	.set _ZN9rocsolver6v33100L16mfma_gemm_kernelIdidPdPKS2_S2_EEv18rocblas_operation_S5_T0_S6_S6_T1_T2_lS6_S6_lT3_lS6_S6_lS7_T4_lS6_S6_l.private_seg_size, 0
	.set _ZN9rocsolver6v33100L16mfma_gemm_kernelIdidPdPKS2_S2_EEv18rocblas_operation_S5_T0_S6_S6_T1_T2_lS6_S6_lT3_lS6_S6_lS7_T4_lS6_S6_l.uses_vcc, 0
	.set _ZN9rocsolver6v33100L16mfma_gemm_kernelIdidPdPKS2_S2_EEv18rocblas_operation_S5_T0_S6_S6_T1_T2_lS6_S6_lT3_lS6_S6_lS7_T4_lS6_S6_l.uses_flat_scratch, 0
	.set _ZN9rocsolver6v33100L16mfma_gemm_kernelIdidPdPKS2_S2_EEv18rocblas_operation_S5_T0_S6_S6_T1_T2_lS6_S6_lT3_lS6_S6_lS7_T4_lS6_S6_l.has_dyn_sized_stack, 0
	.set _ZN9rocsolver6v33100L16mfma_gemm_kernelIdidPdPKS2_S2_EEv18rocblas_operation_S5_T0_S6_S6_T1_T2_lS6_S6_lT3_lS6_S6_lS7_T4_lS6_S6_l.has_recursion, 0
	.set _ZN9rocsolver6v33100L16mfma_gemm_kernelIdidPdPKS2_S2_EEv18rocblas_operation_S5_T0_S6_S6_T1_T2_lS6_S6_lT3_lS6_S6_lS7_T4_lS6_S6_l.has_indirect_call, 0
	.section	.AMDGPU.csdata,"",@progbits
; Kernel info:
; codeLenInByte = 4
; TotalNumSgprs: 4
; NumVgprs: 0
; ScratchSize: 0
; MemoryBound: 0
; FloatMode: 240
; IeeeMode: 1
; LDSByteSize: 0 bytes/workgroup (compile time only)
; SGPRBlocks: 0
; VGPRBlocks: 0
; NumSGPRsForWavesPerEU: 4
; NumVGPRsForWavesPerEU: 1
; Occupancy: 10
; WaveLimiterHint : 0
; COMPUTE_PGM_RSRC2:SCRATCH_EN: 0
; COMPUTE_PGM_RSRC2:USER_SGPR: 6
; COMPUTE_PGM_RSRC2:TRAP_HANDLER: 0
; COMPUTE_PGM_RSRC2:TGID_X_EN: 1
; COMPUTE_PGM_RSRC2:TGID_Y_EN: 0
; COMPUTE_PGM_RSRC2:TGID_Z_EN: 0
; COMPUTE_PGM_RSRC2:TIDIG_COMP_CNT: 0
	.section	.text._ZN9rocsolver6v33100L11gemm_kernelIdiPKdPdPKS4_S4_EEvT0_S7_S7_T1_bT2_lS7_S7_lbT3_lS7_S7_lS8_T4_lS7_S7_l,"axG",@progbits,_ZN9rocsolver6v33100L11gemm_kernelIdiPKdPdPKS4_S4_EEvT0_S7_S7_T1_bT2_lS7_S7_lbT3_lS7_S7_lS8_T4_lS7_S7_l,comdat
	.globl	_ZN9rocsolver6v33100L11gemm_kernelIdiPKdPdPKS4_S4_EEvT0_S7_S7_T1_bT2_lS7_S7_lbT3_lS7_S7_lS8_T4_lS7_S7_l ; -- Begin function _ZN9rocsolver6v33100L11gemm_kernelIdiPKdPdPKS4_S4_EEvT0_S7_S7_T1_bT2_lS7_S7_lbT3_lS7_S7_lS8_T4_lS7_S7_l
	.p2align	8
	.type	_ZN9rocsolver6v33100L11gemm_kernelIdiPKdPdPKS4_S4_EEvT0_S7_S7_T1_bT2_lS7_S7_lbT3_lS7_S7_lS8_T4_lS7_S7_l,@function
_ZN9rocsolver6v33100L11gemm_kernelIdiPKdPdPKS4_S4_EEvT0_S7_S7_T1_bT2_lS7_S7_lbT3_lS7_S7_lS8_T4_lS7_S7_l: ; @_ZN9rocsolver6v33100L11gemm_kernelIdiPKdPdPKS4_S4_EEvT0_S7_S7_T1_bT2_lS7_S7_lbT3_lS7_S7_lS8_T4_lS7_S7_l
; %bb.0:
	s_load_dword s0, s[4:5], 0x9c
	s_load_dwordx4 s[20:23], s[4:5], 0x0
	s_waitcnt lgkmcnt(0)
	s_lshr_b32 s1, s0, 16
	s_and_b32 s0, s0, 0xffff
	s_mul_i32 s6, s6, s0
	s_mul_i32 s7, s7, s1
	v_add_u32_e32 v7, s6, v0
	v_add_u32_e32 v6, s7, v1
	v_cmp_gt_i32_e32 vcc, s20, v7
	v_cmp_gt_i32_e64 s[0:1], s21, v6
	s_and_b64 s[0:1], vcc, s[0:1]
	s_and_saveexec_b64 s[2:3], s[0:1]
	s_cbranch_execz .LBB27_6
; %bb.1:
	s_load_dwordx2 s[6:7], s[4:5], 0x78
	s_load_dwordx2 s[10:11], s[4:5], 0x10
	s_load_dwordx4 s[0:3], s[4:5], 0x68
	s_ashr_i32 s9, s8, 31
	s_cmp_lt_i32 s22, 1
	s_cbranch_scc1 .LBB27_4
; %bb.2:
	s_load_dwordx4 s[24:27], s[4:5], 0x48
	s_load_dwordx2 s[20:21], s[4:5], 0x58
	s_load_dwordx8 s[12:19], s[4:5], 0x20
	s_lshl_b64 s[28:29], s[8:9], 3
	s_waitcnt lgkmcnt(0)
	s_add_u32 s24, s24, s28
	v_mul_lo_u32 v0, v6, s21
	s_addc_u32 s25, s25, s29
	s_load_dwordx2 s[24:25], s[24:25], 0x0
	s_lshl_b64 s[26:27], s[26:27], 3
	v_ashrrev_i32_e32 v1, 31, v0
	v_lshlrev_b64 v[0:1], 3, v[0:1]
	v_mul_lo_u32 v4, v7, s16
	s_waitcnt lgkmcnt(0)
	s_add_u32 s16, s24, s26
	v_add_co_u32_e32 v2, vcc, s16, v0
	s_mul_i32 s16, s18, s9
	s_mul_hi_u32 s23, s18, s8
	s_addc_u32 s21, s25, s27
	s_add_i32 s16, s23, s16
	s_mul_i32 s19, s19, s8
	v_mov_b32_e32 v3, s21
	s_ashr_i32 s21, s20, 31
	s_add_i32 s19, s16, s19
	s_mul_i32 s18, s18, s8
	s_lshl_b64 s[20:21], s[20:21], 3
	s_lshl_b64 s[18:19], s[18:19], 3
	;; [unrolled: 1-line block ×3, first 2 shown]
	s_add_u32 s14, s18, s14
	s_addc_u32 s15, s19, s15
	v_ashrrev_i32_e32 v5, 31, v4
	v_addc_co_u32_e32 v3, vcc, v3, v1, vcc
	v_lshlrev_b64 v[0:1], 3, v[4:5]
	s_add_u32 s12, s12, s14
	s_addc_u32 s13, s13, s15
	v_mov_b32_e32 v5, s13
	v_add_co_u32_e32 v4, vcc, s12, v0
	s_ashr_i32 s13, s17, 31
	s_mov_b32 s12, s17
	v_addc_co_u32_e32 v5, vcc, v5, v1, vcc
	s_lshl_b64 s[12:13], s[12:13], 3
	v_mov_b32_e32 v0, 0
	v_mov_b32_e32 v1, 0
	;; [unrolled: 1-line block ×4, first 2 shown]
.LBB27_3:                               ; =>This Inner Loop Header: Depth=1
	global_load_dwordx2 v[10:11], v[4:5], off
	flat_load_dwordx2 v[12:13], v[2:3]
	v_add_co_u32_e32 v2, vcc, s20, v2
	v_addc_co_u32_e32 v3, vcc, v3, v8, vcc
	v_add_co_u32_e32 v4, vcc, s12, v4
	s_add_i32 s22, s22, -1
	s_cmp_eq_u32 s22, 0
	v_addc_co_u32_e32 v5, vcc, v5, v9, vcc
	s_waitcnt vmcnt(0) lgkmcnt(0)
	v_fma_f64 v[0:1], v[10:11], v[12:13], v[0:1]
	s_cbranch_scc0 .LBB27_3
	s_branch .LBB27_5
.LBB27_4:
	v_mov_b32_e32 v0, 0
	v_mov_b32_e32 v1, 0
.LBB27_5:
	s_waitcnt lgkmcnt(0)
	s_load_dwordx2 s[12:13], s[10:11], 0x0
	s_load_dwordx2 s[14:15], s[0:1], 0x0
                                        ; kill: killed $sgpr10_sgpr11
                                        ; kill: killed $sgpr0_sgpr1
	s_load_dwordx4 s[16:19], s[4:5], 0x80
	s_waitcnt lgkmcnt(0)
	s_mul_i32 s1, s18, s9
	s_mul_hi_u32 s4, s18, s8
	s_mul_i32 s5, s19, s8
	v_mul_lo_u32 v2, v7, s16
	s_add_i32 s1, s4, s1
	s_mul_i32 s0, s18, s8
	s_add_i32 s1, s1, s5
	s_lshl_b64 s[0:1], s[0:1], 3
	s_add_u32 s2, s2, s0
	s_addc_u32 s3, s3, s1
	v_mad_u64_u32 v[2:3], s[0:1], v6, s17, v[2:3]
	s_lshl_b64 s[0:1], s[6:7], 3
	s_add_u32 s0, s2, s0
	v_ashrrev_i32_e32 v3, 31, v2
	v_lshlrev_b64 v[2:3], 3, v[2:3]
	s_addc_u32 s1, s3, s1
	v_mov_b32_e32 v4, s1
	v_add_co_u32_e32 v2, vcc, s0, v2
	v_addc_co_u32_e32 v3, vcc, v4, v3, vcc
	global_load_dwordx2 v[4:5], v[2:3], off
	s_waitcnt vmcnt(0)
	v_mul_f64 v[4:5], s[14:15], v[4:5]
	v_fma_f64 v[0:1], s[12:13], v[0:1], v[4:5]
	global_store_dwordx2 v[2:3], v[0:1], off
.LBB27_6:
	s_endpgm
	.section	.rodata,"a",@progbits
	.p2align	6, 0x0
	.amdhsa_kernel _ZN9rocsolver6v33100L11gemm_kernelIdiPKdPdPKS4_S4_EEvT0_S7_S7_T1_bT2_lS7_S7_lbT3_lS7_S7_lS8_T4_lS7_S7_l
		.amdhsa_group_segment_fixed_size 0
		.amdhsa_private_segment_fixed_size 0
		.amdhsa_kernarg_size 400
		.amdhsa_user_sgpr_count 6
		.amdhsa_user_sgpr_private_segment_buffer 1
		.amdhsa_user_sgpr_dispatch_ptr 0
		.amdhsa_user_sgpr_queue_ptr 0
		.amdhsa_user_sgpr_kernarg_segment_ptr 1
		.amdhsa_user_sgpr_dispatch_id 0
		.amdhsa_user_sgpr_flat_scratch_init 0
		.amdhsa_user_sgpr_private_segment_size 0
		.amdhsa_uses_dynamic_stack 0
		.amdhsa_system_sgpr_private_segment_wavefront_offset 0
		.amdhsa_system_sgpr_workgroup_id_x 1
		.amdhsa_system_sgpr_workgroup_id_y 1
		.amdhsa_system_sgpr_workgroup_id_z 1
		.amdhsa_system_sgpr_workgroup_info 0
		.amdhsa_system_vgpr_workitem_id 1
		.amdhsa_next_free_vgpr 14
		.amdhsa_next_free_sgpr 30
		.amdhsa_reserve_vcc 1
		.amdhsa_reserve_flat_scratch 0
		.amdhsa_float_round_mode_32 0
		.amdhsa_float_round_mode_16_64 0
		.amdhsa_float_denorm_mode_32 3
		.amdhsa_float_denorm_mode_16_64 3
		.amdhsa_dx10_clamp 1
		.amdhsa_ieee_mode 1
		.amdhsa_fp16_overflow 0
		.amdhsa_exception_fp_ieee_invalid_op 0
		.amdhsa_exception_fp_denorm_src 0
		.amdhsa_exception_fp_ieee_div_zero 0
		.amdhsa_exception_fp_ieee_overflow 0
		.amdhsa_exception_fp_ieee_underflow 0
		.amdhsa_exception_fp_ieee_inexact 0
		.amdhsa_exception_int_div_zero 0
	.end_amdhsa_kernel
	.section	.text._ZN9rocsolver6v33100L11gemm_kernelIdiPKdPdPKS4_S4_EEvT0_S7_S7_T1_bT2_lS7_S7_lbT3_lS7_S7_lS8_T4_lS7_S7_l,"axG",@progbits,_ZN9rocsolver6v33100L11gemm_kernelIdiPKdPdPKS4_S4_EEvT0_S7_S7_T1_bT2_lS7_S7_lbT3_lS7_S7_lS8_T4_lS7_S7_l,comdat
.Lfunc_end27:
	.size	_ZN9rocsolver6v33100L11gemm_kernelIdiPKdPdPKS4_S4_EEvT0_S7_S7_T1_bT2_lS7_S7_lbT3_lS7_S7_lS8_T4_lS7_S7_l, .Lfunc_end27-_ZN9rocsolver6v33100L11gemm_kernelIdiPKdPdPKS4_S4_EEvT0_S7_S7_T1_bT2_lS7_S7_lbT3_lS7_S7_lS8_T4_lS7_S7_l
                                        ; -- End function
	.set _ZN9rocsolver6v33100L11gemm_kernelIdiPKdPdPKS4_S4_EEvT0_S7_S7_T1_bT2_lS7_S7_lbT3_lS7_S7_lS8_T4_lS7_S7_l.num_vgpr, 14
	.set _ZN9rocsolver6v33100L11gemm_kernelIdiPKdPdPKS4_S4_EEvT0_S7_S7_T1_bT2_lS7_S7_lbT3_lS7_S7_lS8_T4_lS7_S7_l.num_agpr, 0
	.set _ZN9rocsolver6v33100L11gemm_kernelIdiPKdPdPKS4_S4_EEvT0_S7_S7_T1_bT2_lS7_S7_lbT3_lS7_S7_lS8_T4_lS7_S7_l.numbered_sgpr, 30
	.set _ZN9rocsolver6v33100L11gemm_kernelIdiPKdPdPKS4_S4_EEvT0_S7_S7_T1_bT2_lS7_S7_lbT3_lS7_S7_lS8_T4_lS7_S7_l.num_named_barrier, 0
	.set _ZN9rocsolver6v33100L11gemm_kernelIdiPKdPdPKS4_S4_EEvT0_S7_S7_T1_bT2_lS7_S7_lbT3_lS7_S7_lS8_T4_lS7_S7_l.private_seg_size, 0
	.set _ZN9rocsolver6v33100L11gemm_kernelIdiPKdPdPKS4_S4_EEvT0_S7_S7_T1_bT2_lS7_S7_lbT3_lS7_S7_lS8_T4_lS7_S7_l.uses_vcc, 1
	.set _ZN9rocsolver6v33100L11gemm_kernelIdiPKdPdPKS4_S4_EEvT0_S7_S7_T1_bT2_lS7_S7_lbT3_lS7_S7_lS8_T4_lS7_S7_l.uses_flat_scratch, 0
	.set _ZN9rocsolver6v33100L11gemm_kernelIdiPKdPdPKS4_S4_EEvT0_S7_S7_T1_bT2_lS7_S7_lbT3_lS7_S7_lS8_T4_lS7_S7_l.has_dyn_sized_stack, 0
	.set _ZN9rocsolver6v33100L11gemm_kernelIdiPKdPdPKS4_S4_EEvT0_S7_S7_T1_bT2_lS7_S7_lbT3_lS7_S7_lS8_T4_lS7_S7_l.has_recursion, 0
	.set _ZN9rocsolver6v33100L11gemm_kernelIdiPKdPdPKS4_S4_EEvT0_S7_S7_T1_bT2_lS7_S7_lbT3_lS7_S7_lS8_T4_lS7_S7_l.has_indirect_call, 0
	.section	.AMDGPU.csdata,"",@progbits
; Kernel info:
; codeLenInByte = 548
; TotalNumSgprs: 34
; NumVgprs: 14
; ScratchSize: 0
; MemoryBound: 0
; FloatMode: 240
; IeeeMode: 1
; LDSByteSize: 0 bytes/workgroup (compile time only)
; SGPRBlocks: 4
; VGPRBlocks: 3
; NumSGPRsForWavesPerEU: 34
; NumVGPRsForWavesPerEU: 14
; Occupancy: 10
; WaveLimiterHint : 1
; COMPUTE_PGM_RSRC2:SCRATCH_EN: 0
; COMPUTE_PGM_RSRC2:USER_SGPR: 6
; COMPUTE_PGM_RSRC2:TRAP_HANDLER: 0
; COMPUTE_PGM_RSRC2:TGID_X_EN: 1
; COMPUTE_PGM_RSRC2:TGID_Y_EN: 1
; COMPUTE_PGM_RSRC2:TGID_Z_EN: 1
; COMPUTE_PGM_RSRC2:TIDIG_COMP_CNT: 1
	.section	.text._ZN9rocsolver6v33100L11gemm_kernelIdidPdPKS2_S2_EEvT0_S5_S5_T1_bT2_lS5_S5_lbT3_lS5_S5_lS6_T4_lS5_S5_l,"axG",@progbits,_ZN9rocsolver6v33100L11gemm_kernelIdidPdPKS2_S2_EEvT0_S5_S5_T1_bT2_lS5_S5_lbT3_lS5_S5_lS6_T4_lS5_S5_l,comdat
	.globl	_ZN9rocsolver6v33100L11gemm_kernelIdidPdPKS2_S2_EEvT0_S5_S5_T1_bT2_lS5_S5_lbT3_lS5_S5_lS6_T4_lS5_S5_l ; -- Begin function _ZN9rocsolver6v33100L11gemm_kernelIdidPdPKS2_S2_EEvT0_S5_S5_T1_bT2_lS5_S5_lbT3_lS5_S5_lS6_T4_lS5_S5_l
	.p2align	8
	.type	_ZN9rocsolver6v33100L11gemm_kernelIdidPdPKS2_S2_EEvT0_S5_S5_T1_bT2_lS5_S5_lbT3_lS5_S5_lS6_T4_lS5_S5_l,@function
_ZN9rocsolver6v33100L11gemm_kernelIdidPdPKS2_S2_EEvT0_S5_S5_T1_bT2_lS5_S5_lbT3_lS5_S5_lS6_T4_lS5_S5_l: ; @_ZN9rocsolver6v33100L11gemm_kernelIdidPdPKS2_S2_EEvT0_S5_S5_T1_bT2_lS5_S5_lbT3_lS5_S5_lS6_T4_lS5_S5_l
; %bb.0:
	s_load_dword s9, s[4:5], 0x9c
	s_load_dwordx4 s[0:3], s[4:5], 0x0
	s_waitcnt lgkmcnt(0)
	s_lshr_b32 s3, s9, 16
	s_and_b32 s9, s9, 0xffff
	s_mul_i32 s6, s6, s9
	s_mul_i32 s7, s7, s3
	v_add_u32_e32 v7, s6, v0
	v_add_u32_e32 v6, s7, v1
	v_cmp_gt_i32_e32 vcc, s0, v7
	v_cmp_gt_i32_e64 s[0:1], s1, v6
	s_and_b64 s[0:1], vcc, s[0:1]
	s_and_saveexec_b64 s[6:7], s[0:1]
	s_cbranch_execz .LBB28_6
; %bb.1:
	s_ashr_i32 s9, s8, 31
	s_cmp_lt_i32 s2, 1
	s_cbranch_scc1 .LBB28_4
; %bb.2:
	s_load_dwordx4 s[20:23], s[4:5], 0x48
	s_load_dwordx2 s[0:1], s[4:5], 0x58
	s_load_dwordx8 s[12:19], s[4:5], 0x20
	s_lshl_b64 s[6:7], s[8:9], 3
	s_waitcnt lgkmcnt(0)
	s_add_u32 s6, s20, s6
	s_addc_u32 s7, s21, s7
	s_load_dwordx2 s[6:7], s[6:7], 0x0
	v_mul_lo_u32 v0, v6, s1
	s_lshl_b64 s[10:11], s[22:23], 3
	v_mul_lo_u32 v4, v7, s16
	v_ashrrev_i32_e32 v1, 31, v0
	s_waitcnt lgkmcnt(0)
	s_add_u32 s1, s6, s10
	s_addc_u32 s3, s7, s11
	v_lshlrev_b64 v[0:1], 3, v[0:1]
	v_mov_b32_e32 v3, s3
	s_mul_i32 s3, s18, s9
	s_mul_hi_u32 s6, s18, s8
	s_add_i32 s3, s6, s3
	s_mul_i32 s6, s19, s8
	v_add_co_u32_e32 v2, vcc, s1, v0
	s_ashr_i32 s1, s0, 31
	s_add_i32 s7, s3, s6
	s_mul_i32 s6, s18, s8
	s_lshl_b64 s[0:1], s[0:1], 3
	s_lshl_b64 s[6:7], s[6:7], 3
	;; [unrolled: 1-line block ×3, first 2 shown]
	s_add_u32 s3, s6, s10
	s_addc_u32 s6, s7, s11
	v_ashrrev_i32_e32 v5, 31, v4
	v_addc_co_u32_e32 v3, vcc, v3, v1, vcc
	v_lshlrev_b64 v[0:1], 3, v[4:5]
	s_add_u32 s3, s12, s3
	s_addc_u32 s6, s13, s6
	v_mov_b32_e32 v5, s6
	v_add_co_u32_e32 v4, vcc, s3, v0
	s_ashr_i32 s7, s17, 31
	s_mov_b32 s6, s17
	v_addc_co_u32_e32 v5, vcc, v5, v1, vcc
	s_lshl_b64 s[6:7], s[6:7], 3
	v_mov_b32_e32 v0, 0
	v_mov_b32_e32 v1, 0
	;; [unrolled: 1-line block ×4, first 2 shown]
.LBB28_3:                               ; =>This Inner Loop Header: Depth=1
	global_load_dwordx2 v[10:11], v[4:5], off
	flat_load_dwordx2 v[12:13], v[2:3]
	v_add_co_u32_e32 v2, vcc, s0, v2
	v_addc_co_u32_e32 v3, vcc, v3, v8, vcc
	v_add_co_u32_e32 v4, vcc, s6, v4
	s_add_i32 s2, s2, -1
	s_cmp_eq_u32 s2, 0
	v_addc_co_u32_e32 v5, vcc, v5, v9, vcc
	s_waitcnt vmcnt(0) lgkmcnt(0)
	v_fma_f64 v[0:1], v[10:11], v[12:13], v[0:1]
	s_cbranch_scc0 .LBB28_3
	s_branch .LBB28_5
.LBB28_4:
	v_mov_b32_e32 v0, 0
	v_mov_b32_e32 v1, 0
.LBB28_5:
	s_load_dwordx2 s[0:1], s[4:5], 0x88
	s_load_dwordx8 s[12:19], s[4:5], 0x68
	s_waitcnt lgkmcnt(0)
	s_mul_i32 s2, s0, s9
	s_mul_hi_u32 s3, s0, s8
	s_mul_i32 s1, s1, s8
	s_add_i32 s2, s3, s2
	v_mul_lo_u32 v2, v7, s18
	s_mul_i32 s0, s0, s8
	s_add_i32 s1, s2, s1
	s_lshl_b64 s[0:1], s[0:1], 3
	s_add_u32 s2, s14, s0
	s_addc_u32 s3, s15, s1
	v_mad_u64_u32 v[2:3], s[0:1], v6, s19, v[2:3]
	s_lshl_b64 s[0:1], s[16:17], 3
	s_add_u32 s0, s2, s0
	v_ashrrev_i32_e32 v3, 31, v2
	v_lshlrev_b64 v[2:3], 3, v[2:3]
	s_addc_u32 s1, s3, s1
	v_mov_b32_e32 v4, s1
	v_add_co_u32_e32 v2, vcc, s0, v2
	v_addc_co_u32_e32 v3, vcc, v4, v3, vcc
	global_load_dwordx2 v[4:5], v[2:3], off
	s_load_dwordx2 s[0:1], s[4:5], 0x10
	s_waitcnt vmcnt(0)
	v_mul_f64 v[4:5], s[12:13], v[4:5]
	s_waitcnt lgkmcnt(0)
	v_fma_f64 v[0:1], s[0:1], v[0:1], v[4:5]
	global_store_dwordx2 v[2:3], v[0:1], off
.LBB28_6:
	s_endpgm
	.section	.rodata,"a",@progbits
	.p2align	6, 0x0
	.amdhsa_kernel _ZN9rocsolver6v33100L11gemm_kernelIdidPdPKS2_S2_EEvT0_S5_S5_T1_bT2_lS5_S5_lbT3_lS5_S5_lS6_T4_lS5_S5_l
		.amdhsa_group_segment_fixed_size 0
		.amdhsa_private_segment_fixed_size 0
		.amdhsa_kernarg_size 400
		.amdhsa_user_sgpr_count 6
		.amdhsa_user_sgpr_private_segment_buffer 1
		.amdhsa_user_sgpr_dispatch_ptr 0
		.amdhsa_user_sgpr_queue_ptr 0
		.amdhsa_user_sgpr_kernarg_segment_ptr 1
		.amdhsa_user_sgpr_dispatch_id 0
		.amdhsa_user_sgpr_flat_scratch_init 0
		.amdhsa_user_sgpr_private_segment_size 0
		.amdhsa_uses_dynamic_stack 0
		.amdhsa_system_sgpr_private_segment_wavefront_offset 0
		.amdhsa_system_sgpr_workgroup_id_x 1
		.amdhsa_system_sgpr_workgroup_id_y 1
		.amdhsa_system_sgpr_workgroup_id_z 1
		.amdhsa_system_sgpr_workgroup_info 0
		.amdhsa_system_vgpr_workitem_id 1
		.amdhsa_next_free_vgpr 14
		.amdhsa_next_free_sgpr 24
		.amdhsa_reserve_vcc 1
		.amdhsa_reserve_flat_scratch 0
		.amdhsa_float_round_mode_32 0
		.amdhsa_float_round_mode_16_64 0
		.amdhsa_float_denorm_mode_32 3
		.amdhsa_float_denorm_mode_16_64 3
		.amdhsa_dx10_clamp 1
		.amdhsa_ieee_mode 1
		.amdhsa_fp16_overflow 0
		.amdhsa_exception_fp_ieee_invalid_op 0
		.amdhsa_exception_fp_denorm_src 0
		.amdhsa_exception_fp_ieee_div_zero 0
		.amdhsa_exception_fp_ieee_overflow 0
		.amdhsa_exception_fp_ieee_underflow 0
		.amdhsa_exception_fp_ieee_inexact 0
		.amdhsa_exception_int_div_zero 0
	.end_amdhsa_kernel
	.section	.text._ZN9rocsolver6v33100L11gemm_kernelIdidPdPKS2_S2_EEvT0_S5_S5_T1_bT2_lS5_S5_lbT3_lS5_S5_lS6_T4_lS5_S5_l,"axG",@progbits,_ZN9rocsolver6v33100L11gemm_kernelIdidPdPKS2_S2_EEvT0_S5_S5_T1_bT2_lS5_S5_lbT3_lS5_S5_lS6_T4_lS5_S5_l,comdat
.Lfunc_end28:
	.size	_ZN9rocsolver6v33100L11gemm_kernelIdidPdPKS2_S2_EEvT0_S5_S5_T1_bT2_lS5_S5_lbT3_lS5_S5_lS6_T4_lS5_S5_l, .Lfunc_end28-_ZN9rocsolver6v33100L11gemm_kernelIdidPdPKS2_S2_EEvT0_S5_S5_T1_bT2_lS5_S5_lbT3_lS5_S5_lS6_T4_lS5_S5_l
                                        ; -- End function
	.set _ZN9rocsolver6v33100L11gemm_kernelIdidPdPKS2_S2_EEvT0_S5_S5_T1_bT2_lS5_S5_lbT3_lS5_S5_lS6_T4_lS5_S5_l.num_vgpr, 14
	.set _ZN9rocsolver6v33100L11gemm_kernelIdidPdPKS2_S2_EEvT0_S5_S5_T1_bT2_lS5_S5_lbT3_lS5_S5_lS6_T4_lS5_S5_l.num_agpr, 0
	.set _ZN9rocsolver6v33100L11gemm_kernelIdidPdPKS2_S2_EEvT0_S5_S5_T1_bT2_lS5_S5_lbT3_lS5_S5_lS6_T4_lS5_S5_l.numbered_sgpr, 24
	.set _ZN9rocsolver6v33100L11gemm_kernelIdidPdPKS2_S2_EEvT0_S5_S5_T1_bT2_lS5_S5_lbT3_lS5_S5_lS6_T4_lS5_S5_l.num_named_barrier, 0
	.set _ZN9rocsolver6v33100L11gemm_kernelIdidPdPKS2_S2_EEvT0_S5_S5_T1_bT2_lS5_S5_lbT3_lS5_S5_lS6_T4_lS5_S5_l.private_seg_size, 0
	.set _ZN9rocsolver6v33100L11gemm_kernelIdidPdPKS2_S2_EEvT0_S5_S5_T1_bT2_lS5_S5_lbT3_lS5_S5_lS6_T4_lS5_S5_l.uses_vcc, 1
	.set _ZN9rocsolver6v33100L11gemm_kernelIdidPdPKS2_S2_EEvT0_S5_S5_T1_bT2_lS5_S5_lbT3_lS5_S5_lS6_T4_lS5_S5_l.uses_flat_scratch, 0
	.set _ZN9rocsolver6v33100L11gemm_kernelIdidPdPKS2_S2_EEvT0_S5_S5_T1_bT2_lS5_S5_lbT3_lS5_S5_lS6_T4_lS5_S5_l.has_dyn_sized_stack, 0
	.set _ZN9rocsolver6v33100L11gemm_kernelIdidPdPKS2_S2_EEvT0_S5_S5_T1_bT2_lS5_S5_lbT3_lS5_S5_lS6_T4_lS5_S5_l.has_recursion, 0
	.set _ZN9rocsolver6v33100L11gemm_kernelIdidPdPKS2_S2_EEvT0_S5_S5_T1_bT2_lS5_S5_lbT3_lS5_S5_lS6_T4_lS5_S5_l.has_indirect_call, 0
	.section	.AMDGPU.csdata,"",@progbits
; Kernel info:
; codeLenInByte = 524
; TotalNumSgprs: 28
; NumVgprs: 14
; ScratchSize: 0
; MemoryBound: 0
; FloatMode: 240
; IeeeMode: 1
; LDSByteSize: 0 bytes/workgroup (compile time only)
; SGPRBlocks: 3
; VGPRBlocks: 3
; NumSGPRsForWavesPerEU: 28
; NumVGPRsForWavesPerEU: 14
; Occupancy: 10
; WaveLimiterHint : 1
; COMPUTE_PGM_RSRC2:SCRATCH_EN: 0
; COMPUTE_PGM_RSRC2:USER_SGPR: 6
; COMPUTE_PGM_RSRC2:TRAP_HANDLER: 0
; COMPUTE_PGM_RSRC2:TGID_X_EN: 1
; COMPUTE_PGM_RSRC2:TGID_Y_EN: 1
; COMPUTE_PGM_RSRC2:TGID_Z_EN: 1
; COMPUTE_PGM_RSRC2:TIDIG_COMP_CNT: 1
	.section	.text._ZN9rocsolver6v33100L16mfma_gemm_kernelIdiPKdPdS4_PKS4_EEv18rocblas_operation_S7_T0_S8_S8_T1_T2_lS8_S8_lT3_lS8_S8_lS9_T4_lS8_S8_l,"axG",@progbits,_ZN9rocsolver6v33100L16mfma_gemm_kernelIdiPKdPdS4_PKS4_EEv18rocblas_operation_S7_T0_S8_S8_T1_T2_lS8_S8_lT3_lS8_S8_lS9_T4_lS8_S8_l,comdat
	.globl	_ZN9rocsolver6v33100L16mfma_gemm_kernelIdiPKdPdS4_PKS4_EEv18rocblas_operation_S7_T0_S8_S8_T1_T2_lS8_S8_lT3_lS8_S8_lS9_T4_lS8_S8_l ; -- Begin function _ZN9rocsolver6v33100L16mfma_gemm_kernelIdiPKdPdS4_PKS4_EEv18rocblas_operation_S7_T0_S8_S8_T1_T2_lS8_S8_lT3_lS8_S8_lS9_T4_lS8_S8_l
	.p2align	8
	.type	_ZN9rocsolver6v33100L16mfma_gemm_kernelIdiPKdPdS4_PKS4_EEv18rocblas_operation_S7_T0_S8_S8_T1_T2_lS8_S8_lT3_lS8_S8_lS9_T4_lS8_S8_l,@function
_ZN9rocsolver6v33100L16mfma_gemm_kernelIdiPKdPdS4_PKS4_EEv18rocblas_operation_S7_T0_S8_S8_T1_T2_lS8_S8_lT3_lS8_S8_lS9_T4_lS8_S8_l: ; @_ZN9rocsolver6v33100L16mfma_gemm_kernelIdiPKdPdS4_PKS4_EEv18rocblas_operation_S7_T0_S8_S8_T1_T2_lS8_S8_lT3_lS8_S8_lS9_T4_lS8_S8_l
; %bb.0:
	s_endpgm
	.section	.rodata,"a",@progbits
	.p2align	6, 0x0
	.amdhsa_kernel _ZN9rocsolver6v33100L16mfma_gemm_kernelIdiPKdPdS4_PKS4_EEv18rocblas_operation_S7_T0_S8_S8_T1_T2_lS8_S8_lT3_lS8_S8_lS9_T4_lS8_S8_l
		.amdhsa_group_segment_fixed_size 0
		.amdhsa_private_segment_fixed_size 0
		.amdhsa_kernarg_size 136
		.amdhsa_user_sgpr_count 6
		.amdhsa_user_sgpr_private_segment_buffer 1
		.amdhsa_user_sgpr_dispatch_ptr 0
		.amdhsa_user_sgpr_queue_ptr 0
		.amdhsa_user_sgpr_kernarg_segment_ptr 1
		.amdhsa_user_sgpr_dispatch_id 0
		.amdhsa_user_sgpr_flat_scratch_init 0
		.amdhsa_user_sgpr_private_segment_size 0
		.amdhsa_uses_dynamic_stack 0
		.amdhsa_system_sgpr_private_segment_wavefront_offset 0
		.amdhsa_system_sgpr_workgroup_id_x 1
		.amdhsa_system_sgpr_workgroup_id_y 0
		.amdhsa_system_sgpr_workgroup_id_z 0
		.amdhsa_system_sgpr_workgroup_info 0
		.amdhsa_system_vgpr_workitem_id 0
		.amdhsa_next_free_vgpr 1
		.amdhsa_next_free_sgpr 0
		.amdhsa_reserve_vcc 0
		.amdhsa_reserve_flat_scratch 0
		.amdhsa_float_round_mode_32 0
		.amdhsa_float_round_mode_16_64 0
		.amdhsa_float_denorm_mode_32 3
		.amdhsa_float_denorm_mode_16_64 3
		.amdhsa_dx10_clamp 1
		.amdhsa_ieee_mode 1
		.amdhsa_fp16_overflow 0
		.amdhsa_exception_fp_ieee_invalid_op 0
		.amdhsa_exception_fp_denorm_src 0
		.amdhsa_exception_fp_ieee_div_zero 0
		.amdhsa_exception_fp_ieee_overflow 0
		.amdhsa_exception_fp_ieee_underflow 0
		.amdhsa_exception_fp_ieee_inexact 0
		.amdhsa_exception_int_div_zero 0
	.end_amdhsa_kernel
	.section	.text._ZN9rocsolver6v33100L16mfma_gemm_kernelIdiPKdPdS4_PKS4_EEv18rocblas_operation_S7_T0_S8_S8_T1_T2_lS8_S8_lT3_lS8_S8_lS9_T4_lS8_S8_l,"axG",@progbits,_ZN9rocsolver6v33100L16mfma_gemm_kernelIdiPKdPdS4_PKS4_EEv18rocblas_operation_S7_T0_S8_S8_T1_T2_lS8_S8_lT3_lS8_S8_lS9_T4_lS8_S8_l,comdat
.Lfunc_end29:
	.size	_ZN9rocsolver6v33100L16mfma_gemm_kernelIdiPKdPdS4_PKS4_EEv18rocblas_operation_S7_T0_S8_S8_T1_T2_lS8_S8_lT3_lS8_S8_lS9_T4_lS8_S8_l, .Lfunc_end29-_ZN9rocsolver6v33100L16mfma_gemm_kernelIdiPKdPdS4_PKS4_EEv18rocblas_operation_S7_T0_S8_S8_T1_T2_lS8_S8_lT3_lS8_S8_lS9_T4_lS8_S8_l
                                        ; -- End function
	.set _ZN9rocsolver6v33100L16mfma_gemm_kernelIdiPKdPdS4_PKS4_EEv18rocblas_operation_S7_T0_S8_S8_T1_T2_lS8_S8_lT3_lS8_S8_lS9_T4_lS8_S8_l.num_vgpr, 0
	.set _ZN9rocsolver6v33100L16mfma_gemm_kernelIdiPKdPdS4_PKS4_EEv18rocblas_operation_S7_T0_S8_S8_T1_T2_lS8_S8_lT3_lS8_S8_lS9_T4_lS8_S8_l.num_agpr, 0
	.set _ZN9rocsolver6v33100L16mfma_gemm_kernelIdiPKdPdS4_PKS4_EEv18rocblas_operation_S7_T0_S8_S8_T1_T2_lS8_S8_lT3_lS8_S8_lS9_T4_lS8_S8_l.numbered_sgpr, 0
	.set _ZN9rocsolver6v33100L16mfma_gemm_kernelIdiPKdPdS4_PKS4_EEv18rocblas_operation_S7_T0_S8_S8_T1_T2_lS8_S8_lT3_lS8_S8_lS9_T4_lS8_S8_l.num_named_barrier, 0
	.set _ZN9rocsolver6v33100L16mfma_gemm_kernelIdiPKdPdS4_PKS4_EEv18rocblas_operation_S7_T0_S8_S8_T1_T2_lS8_S8_lT3_lS8_S8_lS9_T4_lS8_S8_l.private_seg_size, 0
	.set _ZN9rocsolver6v33100L16mfma_gemm_kernelIdiPKdPdS4_PKS4_EEv18rocblas_operation_S7_T0_S8_S8_T1_T2_lS8_S8_lT3_lS8_S8_lS9_T4_lS8_S8_l.uses_vcc, 0
	.set _ZN9rocsolver6v33100L16mfma_gemm_kernelIdiPKdPdS4_PKS4_EEv18rocblas_operation_S7_T0_S8_S8_T1_T2_lS8_S8_lT3_lS8_S8_lS9_T4_lS8_S8_l.uses_flat_scratch, 0
	.set _ZN9rocsolver6v33100L16mfma_gemm_kernelIdiPKdPdS4_PKS4_EEv18rocblas_operation_S7_T0_S8_S8_T1_T2_lS8_S8_lT3_lS8_S8_lS9_T4_lS8_S8_l.has_dyn_sized_stack, 0
	.set _ZN9rocsolver6v33100L16mfma_gemm_kernelIdiPKdPdS4_PKS4_EEv18rocblas_operation_S7_T0_S8_S8_T1_T2_lS8_S8_lT3_lS8_S8_lS9_T4_lS8_S8_l.has_recursion, 0
	.set _ZN9rocsolver6v33100L16mfma_gemm_kernelIdiPKdPdS4_PKS4_EEv18rocblas_operation_S7_T0_S8_S8_T1_T2_lS8_S8_lT3_lS8_S8_lS9_T4_lS8_S8_l.has_indirect_call, 0
	.section	.AMDGPU.csdata,"",@progbits
; Kernel info:
; codeLenInByte = 4
; TotalNumSgprs: 4
; NumVgprs: 0
; ScratchSize: 0
; MemoryBound: 0
; FloatMode: 240
; IeeeMode: 1
; LDSByteSize: 0 bytes/workgroup (compile time only)
; SGPRBlocks: 0
; VGPRBlocks: 0
; NumSGPRsForWavesPerEU: 4
; NumVGPRsForWavesPerEU: 1
; Occupancy: 10
; WaveLimiterHint : 0
; COMPUTE_PGM_RSRC2:SCRATCH_EN: 0
; COMPUTE_PGM_RSRC2:USER_SGPR: 6
; COMPUTE_PGM_RSRC2:TRAP_HANDLER: 0
; COMPUTE_PGM_RSRC2:TGID_X_EN: 1
; COMPUTE_PGM_RSRC2:TGID_Y_EN: 0
; COMPUTE_PGM_RSRC2:TGID_Z_EN: 0
; COMPUTE_PGM_RSRC2:TIDIG_COMP_CNT: 0
	.section	.text._ZN9rocsolver6v33100L16mfma_gemm_kernelIdidPdS2_PKS2_EEv18rocblas_operation_S5_T0_S6_S6_T1_T2_lS6_S6_lT3_lS6_S6_lS7_T4_lS6_S6_l,"axG",@progbits,_ZN9rocsolver6v33100L16mfma_gemm_kernelIdidPdS2_PKS2_EEv18rocblas_operation_S5_T0_S6_S6_T1_T2_lS6_S6_lT3_lS6_S6_lS7_T4_lS6_S6_l,comdat
	.globl	_ZN9rocsolver6v33100L16mfma_gemm_kernelIdidPdS2_PKS2_EEv18rocblas_operation_S5_T0_S6_S6_T1_T2_lS6_S6_lT3_lS6_S6_lS7_T4_lS6_S6_l ; -- Begin function _ZN9rocsolver6v33100L16mfma_gemm_kernelIdidPdS2_PKS2_EEv18rocblas_operation_S5_T0_S6_S6_T1_T2_lS6_S6_lT3_lS6_S6_lS7_T4_lS6_S6_l
	.p2align	8
	.type	_ZN9rocsolver6v33100L16mfma_gemm_kernelIdidPdS2_PKS2_EEv18rocblas_operation_S5_T0_S6_S6_T1_T2_lS6_S6_lT3_lS6_S6_lS7_T4_lS6_S6_l,@function
_ZN9rocsolver6v33100L16mfma_gemm_kernelIdidPdS2_PKS2_EEv18rocblas_operation_S5_T0_S6_S6_T1_T2_lS6_S6_lT3_lS6_S6_lS7_T4_lS6_S6_l: ; @_ZN9rocsolver6v33100L16mfma_gemm_kernelIdidPdS2_PKS2_EEv18rocblas_operation_S5_T0_S6_S6_T1_T2_lS6_S6_lT3_lS6_S6_lS7_T4_lS6_S6_l
; %bb.0:
	s_endpgm
	.section	.rodata,"a",@progbits
	.p2align	6, 0x0
	.amdhsa_kernel _ZN9rocsolver6v33100L16mfma_gemm_kernelIdidPdS2_PKS2_EEv18rocblas_operation_S5_T0_S6_S6_T1_T2_lS6_S6_lT3_lS6_S6_lS7_T4_lS6_S6_l
		.amdhsa_group_segment_fixed_size 0
		.amdhsa_private_segment_fixed_size 0
		.amdhsa_kernarg_size 136
		.amdhsa_user_sgpr_count 6
		.amdhsa_user_sgpr_private_segment_buffer 1
		.amdhsa_user_sgpr_dispatch_ptr 0
		.amdhsa_user_sgpr_queue_ptr 0
		.amdhsa_user_sgpr_kernarg_segment_ptr 1
		.amdhsa_user_sgpr_dispatch_id 0
		.amdhsa_user_sgpr_flat_scratch_init 0
		.amdhsa_user_sgpr_private_segment_size 0
		.amdhsa_uses_dynamic_stack 0
		.amdhsa_system_sgpr_private_segment_wavefront_offset 0
		.amdhsa_system_sgpr_workgroup_id_x 1
		.amdhsa_system_sgpr_workgroup_id_y 0
		.amdhsa_system_sgpr_workgroup_id_z 0
		.amdhsa_system_sgpr_workgroup_info 0
		.amdhsa_system_vgpr_workitem_id 0
		.amdhsa_next_free_vgpr 1
		.amdhsa_next_free_sgpr 0
		.amdhsa_reserve_vcc 0
		.amdhsa_reserve_flat_scratch 0
		.amdhsa_float_round_mode_32 0
		.amdhsa_float_round_mode_16_64 0
		.amdhsa_float_denorm_mode_32 3
		.amdhsa_float_denorm_mode_16_64 3
		.amdhsa_dx10_clamp 1
		.amdhsa_ieee_mode 1
		.amdhsa_fp16_overflow 0
		.amdhsa_exception_fp_ieee_invalid_op 0
		.amdhsa_exception_fp_denorm_src 0
		.amdhsa_exception_fp_ieee_div_zero 0
		.amdhsa_exception_fp_ieee_overflow 0
		.amdhsa_exception_fp_ieee_underflow 0
		.amdhsa_exception_fp_ieee_inexact 0
		.amdhsa_exception_int_div_zero 0
	.end_amdhsa_kernel
	.section	.text._ZN9rocsolver6v33100L16mfma_gemm_kernelIdidPdS2_PKS2_EEv18rocblas_operation_S5_T0_S6_S6_T1_T2_lS6_S6_lT3_lS6_S6_lS7_T4_lS6_S6_l,"axG",@progbits,_ZN9rocsolver6v33100L16mfma_gemm_kernelIdidPdS2_PKS2_EEv18rocblas_operation_S5_T0_S6_S6_T1_T2_lS6_S6_lT3_lS6_S6_lS7_T4_lS6_S6_l,comdat
.Lfunc_end30:
	.size	_ZN9rocsolver6v33100L16mfma_gemm_kernelIdidPdS2_PKS2_EEv18rocblas_operation_S5_T0_S6_S6_T1_T2_lS6_S6_lT3_lS6_S6_lS7_T4_lS6_S6_l, .Lfunc_end30-_ZN9rocsolver6v33100L16mfma_gemm_kernelIdidPdS2_PKS2_EEv18rocblas_operation_S5_T0_S6_S6_T1_T2_lS6_S6_lT3_lS6_S6_lS7_T4_lS6_S6_l
                                        ; -- End function
	.set _ZN9rocsolver6v33100L16mfma_gemm_kernelIdidPdS2_PKS2_EEv18rocblas_operation_S5_T0_S6_S6_T1_T2_lS6_S6_lT3_lS6_S6_lS7_T4_lS6_S6_l.num_vgpr, 0
	.set _ZN9rocsolver6v33100L16mfma_gemm_kernelIdidPdS2_PKS2_EEv18rocblas_operation_S5_T0_S6_S6_T1_T2_lS6_S6_lT3_lS6_S6_lS7_T4_lS6_S6_l.num_agpr, 0
	.set _ZN9rocsolver6v33100L16mfma_gemm_kernelIdidPdS2_PKS2_EEv18rocblas_operation_S5_T0_S6_S6_T1_T2_lS6_S6_lT3_lS6_S6_lS7_T4_lS6_S6_l.numbered_sgpr, 0
	.set _ZN9rocsolver6v33100L16mfma_gemm_kernelIdidPdS2_PKS2_EEv18rocblas_operation_S5_T0_S6_S6_T1_T2_lS6_S6_lT3_lS6_S6_lS7_T4_lS6_S6_l.num_named_barrier, 0
	.set _ZN9rocsolver6v33100L16mfma_gemm_kernelIdidPdS2_PKS2_EEv18rocblas_operation_S5_T0_S6_S6_T1_T2_lS6_S6_lT3_lS6_S6_lS7_T4_lS6_S6_l.private_seg_size, 0
	.set _ZN9rocsolver6v33100L16mfma_gemm_kernelIdidPdS2_PKS2_EEv18rocblas_operation_S5_T0_S6_S6_T1_T2_lS6_S6_lT3_lS6_S6_lS7_T4_lS6_S6_l.uses_vcc, 0
	.set _ZN9rocsolver6v33100L16mfma_gemm_kernelIdidPdS2_PKS2_EEv18rocblas_operation_S5_T0_S6_S6_T1_T2_lS6_S6_lT3_lS6_S6_lS7_T4_lS6_S6_l.uses_flat_scratch, 0
	.set _ZN9rocsolver6v33100L16mfma_gemm_kernelIdidPdS2_PKS2_EEv18rocblas_operation_S5_T0_S6_S6_T1_T2_lS6_S6_lT3_lS6_S6_lS7_T4_lS6_S6_l.has_dyn_sized_stack, 0
	.set _ZN9rocsolver6v33100L16mfma_gemm_kernelIdidPdS2_PKS2_EEv18rocblas_operation_S5_T0_S6_S6_T1_T2_lS6_S6_lT3_lS6_S6_lS7_T4_lS6_S6_l.has_recursion, 0
	.set _ZN9rocsolver6v33100L16mfma_gemm_kernelIdidPdS2_PKS2_EEv18rocblas_operation_S5_T0_S6_S6_T1_T2_lS6_S6_lT3_lS6_S6_lS7_T4_lS6_S6_l.has_indirect_call, 0
	.section	.AMDGPU.csdata,"",@progbits
; Kernel info:
; codeLenInByte = 4
; TotalNumSgprs: 4
; NumVgprs: 0
; ScratchSize: 0
; MemoryBound: 0
; FloatMode: 240
; IeeeMode: 1
; LDSByteSize: 0 bytes/workgroup (compile time only)
; SGPRBlocks: 0
; VGPRBlocks: 0
; NumSGPRsForWavesPerEU: 4
; NumVGPRsForWavesPerEU: 1
; Occupancy: 10
; WaveLimiterHint : 0
; COMPUTE_PGM_RSRC2:SCRATCH_EN: 0
; COMPUTE_PGM_RSRC2:USER_SGPR: 6
; COMPUTE_PGM_RSRC2:TRAP_HANDLER: 0
; COMPUTE_PGM_RSRC2:TGID_X_EN: 1
; COMPUTE_PGM_RSRC2:TGID_Y_EN: 0
; COMPUTE_PGM_RSRC2:TGID_Z_EN: 0
; COMPUTE_PGM_RSRC2:TIDIG_COMP_CNT: 0
	.section	.text._ZN9rocsolver6v33100L11gemm_kernelIdiPKdPdS4_PKS4_EEvT0_S7_S7_T1_bT2_lS7_S7_lbT3_lS7_S7_lS8_T4_lS7_S7_l,"axG",@progbits,_ZN9rocsolver6v33100L11gemm_kernelIdiPKdPdS4_PKS4_EEvT0_S7_S7_T1_bT2_lS7_S7_lbT3_lS7_S7_lS8_T4_lS7_S7_l,comdat
	.globl	_ZN9rocsolver6v33100L11gemm_kernelIdiPKdPdS4_PKS4_EEvT0_S7_S7_T1_bT2_lS7_S7_lbT3_lS7_S7_lS8_T4_lS7_S7_l ; -- Begin function _ZN9rocsolver6v33100L11gemm_kernelIdiPKdPdS4_PKS4_EEvT0_S7_S7_T1_bT2_lS7_S7_lbT3_lS7_S7_lS8_T4_lS7_S7_l
	.p2align	8
	.type	_ZN9rocsolver6v33100L11gemm_kernelIdiPKdPdS4_PKS4_EEvT0_S7_S7_T1_bT2_lS7_S7_lbT3_lS7_S7_lS8_T4_lS7_S7_l,@function
_ZN9rocsolver6v33100L11gemm_kernelIdiPKdPdS4_PKS4_EEvT0_S7_S7_T1_bT2_lS7_S7_lbT3_lS7_S7_lS8_T4_lS7_S7_l: ; @_ZN9rocsolver6v33100L11gemm_kernelIdiPKdPdS4_PKS4_EEvT0_S7_S7_T1_bT2_lS7_S7_lbT3_lS7_S7_lS8_T4_lS7_S7_l
; %bb.0:
	s_load_dword s9, s[4:5], 0x9c
	s_load_dwordx4 s[0:3], s[4:5], 0x0
	s_waitcnt lgkmcnt(0)
	s_lshr_b32 s3, s9, 16
	s_and_b32 s9, s9, 0xffff
	s_mul_i32 s6, s6, s9
	s_mul_i32 s7, s7, s3
	v_add_u32_e32 v7, s6, v0
	v_add_u32_e32 v6, s7, v1
	v_cmp_gt_i32_e32 vcc, s0, v7
	v_cmp_gt_i32_e64 s[0:1], s1, v6
	s_and_b64 s[0:1], vcc, s[0:1]
	s_and_saveexec_b64 s[6:7], s[0:1]
	s_cbranch_execz .LBB31_6
; %bb.1:
	s_load_dwordx8 s[12:19], s[4:5], 0x60
	s_load_dwordx2 s[6:7], s[4:5], 0x10
	s_ashr_i32 s9, s8, 31
	s_lshl_b64 s[0:1], s[8:9], 3
	s_waitcnt lgkmcnt(0)
	s_add_u32 s0, s16, s0
	s_addc_u32 s1, s17, s1
	s_load_dwordx2 s[0:1], s[0:1], 0x0
	s_cmp_lt_i32 s2, 1
	s_cbranch_scc1 .LBB31_4
; %bb.2:
	s_load_dwordx8 s[20:27], s[4:5], 0x20
	s_load_dwordx2 s[10:11], s[4:5], 0x58
	s_load_dwordx4 s[28:31], s[4:5], 0x48
	s_mul_i32 s3, s12, s9
	s_waitcnt lgkmcnt(0)
	v_mul_lo_u32 v0, v7, s24
	v_mul_lo_u32 v1, v6, s11
	s_mul_hi_u32 s11, s12, s8
	s_add_i32 s3, s11, s3
	s_mul_i32 s11, s13, s8
	s_add_i32 s13, s3, s11
	s_mul_i32 s12, s12, s8
	s_lshl_b64 s[12:13], s[12:13], 3
	s_lshl_b64 s[16:17], s[30:31], 3
	s_add_u32 s3, s12, s16
	v_ashrrev_i32_e32 v2, 31, v1
	s_addc_u32 s11, s13, s17
	v_lshlrev_b64 v[2:3], 3, v[1:2]
	s_add_u32 s3, s28, s3
	v_add_co_u32_e32 v2, vcc, s3, v2
	s_mul_i32 s3, s26, s9
	s_mul_hi_u32 s9, s26, s8
	s_addc_u32 s11, s29, s11
	s_add_i32 s3, s9, s3
	s_mul_i32 s9, s27, s8
	v_mov_b32_e32 v1, s11
	s_ashr_i32 s11, s10, 31
	s_add_i32 s9, s3, s9
	s_mul_i32 s8, s26, s8
	s_lshl_b64 s[10:11], s[10:11], 3
	s_lshl_b64 s[8:9], s[8:9], 3
	;; [unrolled: 1-line block ×3, first 2 shown]
	s_add_u32 s3, s8, s12
	v_addc_co_u32_e32 v3, vcc, v1, v3, vcc
	s_addc_u32 s8, s9, s13
	v_ashrrev_i32_e32 v1, 31, v0
	v_lshlrev_b64 v[0:1], 3, v[0:1]
	s_add_u32 s3, s20, s3
	s_addc_u32 s8, s21, s8
	v_mov_b32_e32 v5, s8
	v_add_co_u32_e32 v4, vcc, s3, v0
	s_ashr_i32 s9, s25, 31
	s_mov_b32 s8, s25
	v_addc_co_u32_e32 v5, vcc, v5, v1, vcc
	s_lshl_b64 s[8:9], s[8:9], 3
	v_mov_b32_e32 v0, 0
	v_mov_b32_e32 v1, 0
	;; [unrolled: 1-line block ×4, first 2 shown]
.LBB31_3:                               ; =>This Inner Loop Header: Depth=1
	global_load_dwordx2 v[10:11], v[4:5], off
	global_load_dwordx2 v[12:13], v[2:3], off
	v_add_co_u32_e32 v2, vcc, s10, v2
	v_addc_co_u32_e32 v3, vcc, v3, v8, vcc
	v_add_co_u32_e32 v4, vcc, s8, v4
	s_add_i32 s2, s2, -1
	s_cmp_eq_u32 s2, 0
	v_addc_co_u32_e32 v5, vcc, v5, v9, vcc
	s_waitcnt vmcnt(0)
	v_fma_f64 v[0:1], v[10:11], v[12:13], v[0:1]
	s_cbranch_scc0 .LBB31_3
	s_branch .LBB31_5
.LBB31_4:
	v_mov_b32_e32 v0, 0
	v_mov_b32_e32 v1, 0
.LBB31_5:
	s_load_dwordx2 s[2:3], s[6:7], 0x0
	s_load_dwordx2 s[8:9], s[14:15], 0x0
                                        ; kill: killed $sgpr14_sgpr15
                                        ; kill: killed $sgpr6_sgpr7
	s_nop 0
	s_load_dwordx2 s[4:5], s[4:5], 0x80
	s_lshl_b64 s[6:7], s[18:19], 3
	s_waitcnt lgkmcnt(0)
	s_add_u32 s0, s0, s6
	s_addc_u32 s1, s1, s7
	v_mov_b32_e32 v4, s1
	v_mul_lo_u32 v2, v7, s4
	v_mad_u64_u32 v[2:3], s[4:5], v6, s5, v[2:3]
	v_ashrrev_i32_e32 v3, 31, v2
	v_lshlrev_b64 v[2:3], 3, v[2:3]
	v_add_co_u32_e32 v2, vcc, s0, v2
	v_addc_co_u32_e32 v3, vcc, v4, v3, vcc
	flat_load_dwordx2 v[4:5], v[2:3]
	s_waitcnt vmcnt(0) lgkmcnt(0)
	v_mul_f64 v[4:5], s[8:9], v[4:5]
	v_fma_f64 v[0:1], s[2:3], v[0:1], v[4:5]
	flat_store_dwordx2 v[2:3], v[0:1]
.LBB31_6:
	s_endpgm
	.section	.rodata,"a",@progbits
	.p2align	6, 0x0
	.amdhsa_kernel _ZN9rocsolver6v33100L11gemm_kernelIdiPKdPdS4_PKS4_EEvT0_S7_S7_T1_bT2_lS7_S7_lbT3_lS7_S7_lS8_T4_lS7_S7_l
		.amdhsa_group_segment_fixed_size 0
		.amdhsa_private_segment_fixed_size 0
		.amdhsa_kernarg_size 400
		.amdhsa_user_sgpr_count 6
		.amdhsa_user_sgpr_private_segment_buffer 1
		.amdhsa_user_sgpr_dispatch_ptr 0
		.amdhsa_user_sgpr_queue_ptr 0
		.amdhsa_user_sgpr_kernarg_segment_ptr 1
		.amdhsa_user_sgpr_dispatch_id 0
		.amdhsa_user_sgpr_flat_scratch_init 0
		.amdhsa_user_sgpr_private_segment_size 0
		.amdhsa_uses_dynamic_stack 0
		.amdhsa_system_sgpr_private_segment_wavefront_offset 0
		.amdhsa_system_sgpr_workgroup_id_x 1
		.amdhsa_system_sgpr_workgroup_id_y 1
		.amdhsa_system_sgpr_workgroup_id_z 1
		.amdhsa_system_sgpr_workgroup_info 0
		.amdhsa_system_vgpr_workitem_id 1
		.amdhsa_next_free_vgpr 14
		.amdhsa_next_free_sgpr 32
		.amdhsa_reserve_vcc 1
		.amdhsa_reserve_flat_scratch 0
		.amdhsa_float_round_mode_32 0
		.amdhsa_float_round_mode_16_64 0
		.amdhsa_float_denorm_mode_32 3
		.amdhsa_float_denorm_mode_16_64 3
		.amdhsa_dx10_clamp 1
		.amdhsa_ieee_mode 1
		.amdhsa_fp16_overflow 0
		.amdhsa_exception_fp_ieee_invalid_op 0
		.amdhsa_exception_fp_denorm_src 0
		.amdhsa_exception_fp_ieee_div_zero 0
		.amdhsa_exception_fp_ieee_overflow 0
		.amdhsa_exception_fp_ieee_underflow 0
		.amdhsa_exception_fp_ieee_inexact 0
		.amdhsa_exception_int_div_zero 0
	.end_amdhsa_kernel
	.section	.text._ZN9rocsolver6v33100L11gemm_kernelIdiPKdPdS4_PKS4_EEvT0_S7_S7_T1_bT2_lS7_S7_lbT3_lS7_S7_lS8_T4_lS7_S7_l,"axG",@progbits,_ZN9rocsolver6v33100L11gemm_kernelIdiPKdPdS4_PKS4_EEvT0_S7_S7_T1_bT2_lS7_S7_lbT3_lS7_S7_lS8_T4_lS7_S7_l,comdat
.Lfunc_end31:
	.size	_ZN9rocsolver6v33100L11gemm_kernelIdiPKdPdS4_PKS4_EEvT0_S7_S7_T1_bT2_lS7_S7_lbT3_lS7_S7_lS8_T4_lS7_S7_l, .Lfunc_end31-_ZN9rocsolver6v33100L11gemm_kernelIdiPKdPdS4_PKS4_EEvT0_S7_S7_T1_bT2_lS7_S7_lbT3_lS7_S7_lS8_T4_lS7_S7_l
                                        ; -- End function
	.set _ZN9rocsolver6v33100L11gemm_kernelIdiPKdPdS4_PKS4_EEvT0_S7_S7_T1_bT2_lS7_S7_lbT3_lS7_S7_lS8_T4_lS7_S7_l.num_vgpr, 14
	.set _ZN9rocsolver6v33100L11gemm_kernelIdiPKdPdS4_PKS4_EEvT0_S7_S7_T1_bT2_lS7_S7_lbT3_lS7_S7_lS8_T4_lS7_S7_l.num_agpr, 0
	.set _ZN9rocsolver6v33100L11gemm_kernelIdiPKdPdS4_PKS4_EEvT0_S7_S7_T1_bT2_lS7_S7_lbT3_lS7_S7_lS8_T4_lS7_S7_l.numbered_sgpr, 32
	.set _ZN9rocsolver6v33100L11gemm_kernelIdiPKdPdS4_PKS4_EEvT0_S7_S7_T1_bT2_lS7_S7_lbT3_lS7_S7_lS8_T4_lS7_S7_l.num_named_barrier, 0
	.set _ZN9rocsolver6v33100L11gemm_kernelIdiPKdPdS4_PKS4_EEvT0_S7_S7_T1_bT2_lS7_S7_lbT3_lS7_S7_lS8_T4_lS7_S7_l.private_seg_size, 0
	.set _ZN9rocsolver6v33100L11gemm_kernelIdiPKdPdS4_PKS4_EEvT0_S7_S7_T1_bT2_lS7_S7_lbT3_lS7_S7_lS8_T4_lS7_S7_l.uses_vcc, 1
	.set _ZN9rocsolver6v33100L11gemm_kernelIdiPKdPdS4_PKS4_EEvT0_S7_S7_T1_bT2_lS7_S7_lbT3_lS7_S7_lS8_T4_lS7_S7_l.uses_flat_scratch, 0
	.set _ZN9rocsolver6v33100L11gemm_kernelIdiPKdPdS4_PKS4_EEvT0_S7_S7_T1_bT2_lS7_S7_lbT3_lS7_S7_lS8_T4_lS7_S7_l.has_dyn_sized_stack, 0
	.set _ZN9rocsolver6v33100L11gemm_kernelIdiPKdPdS4_PKS4_EEvT0_S7_S7_T1_bT2_lS7_S7_lbT3_lS7_S7_lS8_T4_lS7_S7_l.has_recursion, 0
	.set _ZN9rocsolver6v33100L11gemm_kernelIdiPKdPdS4_PKS4_EEvT0_S7_S7_T1_bT2_lS7_S7_lbT3_lS7_S7_lS8_T4_lS7_S7_l.has_indirect_call, 0
	.section	.AMDGPU.csdata,"",@progbits
; Kernel info:
; codeLenInByte = 540
; TotalNumSgprs: 36
; NumVgprs: 14
; ScratchSize: 0
; MemoryBound: 0
; FloatMode: 240
; IeeeMode: 1
; LDSByteSize: 0 bytes/workgroup (compile time only)
; SGPRBlocks: 4
; VGPRBlocks: 3
; NumSGPRsForWavesPerEU: 36
; NumVGPRsForWavesPerEU: 14
; Occupancy: 10
; WaveLimiterHint : 1
; COMPUTE_PGM_RSRC2:SCRATCH_EN: 0
; COMPUTE_PGM_RSRC2:USER_SGPR: 6
; COMPUTE_PGM_RSRC2:TRAP_HANDLER: 0
; COMPUTE_PGM_RSRC2:TGID_X_EN: 1
; COMPUTE_PGM_RSRC2:TGID_Y_EN: 1
; COMPUTE_PGM_RSRC2:TGID_Z_EN: 1
; COMPUTE_PGM_RSRC2:TIDIG_COMP_CNT: 1
	.section	.text._ZN9rocsolver6v33100L11gemm_kernelIdidPdS2_PKS2_EEvT0_S5_S5_T1_bT2_lS5_S5_lbT3_lS5_S5_lS6_T4_lS5_S5_l,"axG",@progbits,_ZN9rocsolver6v33100L11gemm_kernelIdidPdS2_PKS2_EEvT0_S5_S5_T1_bT2_lS5_S5_lbT3_lS5_S5_lS6_T4_lS5_S5_l,comdat
	.globl	_ZN9rocsolver6v33100L11gemm_kernelIdidPdS2_PKS2_EEvT0_S5_S5_T1_bT2_lS5_S5_lbT3_lS5_S5_lS6_T4_lS5_S5_l ; -- Begin function _ZN9rocsolver6v33100L11gemm_kernelIdidPdS2_PKS2_EEvT0_S5_S5_T1_bT2_lS5_S5_lbT3_lS5_S5_lS6_T4_lS5_S5_l
	.p2align	8
	.type	_ZN9rocsolver6v33100L11gemm_kernelIdidPdS2_PKS2_EEvT0_S5_S5_T1_bT2_lS5_S5_lbT3_lS5_S5_lS6_T4_lS5_S5_l,@function
_ZN9rocsolver6v33100L11gemm_kernelIdidPdS2_PKS2_EEvT0_S5_S5_T1_bT2_lS5_S5_lbT3_lS5_S5_lS6_T4_lS5_S5_l: ; @_ZN9rocsolver6v33100L11gemm_kernelIdidPdS2_PKS2_EEvT0_S5_S5_T1_bT2_lS5_S5_lbT3_lS5_S5_lS6_T4_lS5_S5_l
; %bb.0:
	s_load_dword s9, s[4:5], 0x9c
	s_load_dwordx4 s[0:3], s[4:5], 0x0
	s_waitcnt lgkmcnt(0)
	s_lshr_b32 s3, s9, 16
	s_and_b32 s9, s9, 0xffff
	s_mul_i32 s6, s6, s9
	s_mul_i32 s7, s7, s3
	v_add_u32_e32 v7, s6, v0
	v_add_u32_e32 v6, s7, v1
	v_cmp_gt_i32_e32 vcc, s0, v7
	v_cmp_gt_i32_e64 s[0:1], s1, v6
	s_and_b64 s[0:1], vcc, s[0:1]
	s_and_saveexec_b64 s[6:7], s[0:1]
	s_cbranch_execz .LBB32_6
; %bb.1:
	s_load_dwordx8 s[12:19], s[4:5], 0x60
	s_ashr_i32 s9, s8, 31
	s_lshl_b64 s[0:1], s[8:9], 3
	s_waitcnt lgkmcnt(0)
	s_add_u32 s0, s16, s0
	s_addc_u32 s1, s17, s1
	s_load_dwordx2 s[0:1], s[0:1], 0x0
	s_cmp_lt_i32 s2, 1
	s_cbranch_scc1 .LBB32_4
; %bb.2:
	s_load_dwordx8 s[20:27], s[4:5], 0x20
	s_load_dwordx2 s[6:7], s[4:5], 0x58
	s_load_dwordx4 s[28:31], s[4:5], 0x48
	s_mul_i32 s3, s12, s9
	s_mul_i32 s10, s12, s8
	s_waitcnt lgkmcnt(0)
	v_mul_lo_u32 v0, v7, s24
	v_mul_lo_u32 v1, v6, s7
	s_mul_hi_u32 s7, s12, s8
	s_add_i32 s3, s7, s3
	s_mul_i32 s7, s13, s8
	s_add_i32 s11, s3, s7
	s_lshl_b64 s[10:11], s[10:11], 3
	s_lshl_b64 s[12:13], s[30:31], 3
	s_add_u32 s3, s10, s12
	v_ashrrev_i32_e32 v2, 31, v1
	s_addc_u32 s7, s11, s13
	v_lshlrev_b64 v[2:3], 3, v[1:2]
	s_add_u32 s3, s28, s3
	v_add_co_u32_e32 v2, vcc, s3, v2
	s_mul_i32 s3, s26, s9
	s_mul_hi_u32 s9, s26, s8
	s_addc_u32 s7, s29, s7
	s_add_i32 s3, s9, s3
	s_mul_i32 s9, s27, s8
	v_mov_b32_e32 v1, s7
	s_ashr_i32 s7, s6, 31
	s_add_i32 s9, s3, s9
	s_mul_i32 s8, s26, s8
	s_lshl_b64 s[6:7], s[6:7], 3
	s_lshl_b64 s[8:9], s[8:9], 3
	s_lshl_b64 s[10:11], s[22:23], 3
	s_add_u32 s3, s8, s10
	v_addc_co_u32_e32 v3, vcc, v1, v3, vcc
	s_addc_u32 s8, s9, s11
	v_ashrrev_i32_e32 v1, 31, v0
	v_lshlrev_b64 v[0:1], 3, v[0:1]
	s_add_u32 s3, s20, s3
	s_addc_u32 s8, s21, s8
	v_mov_b32_e32 v5, s8
	v_add_co_u32_e32 v4, vcc, s3, v0
	s_ashr_i32 s9, s25, 31
	s_mov_b32 s8, s25
	v_addc_co_u32_e32 v5, vcc, v5, v1, vcc
	s_lshl_b64 s[8:9], s[8:9], 3
	v_mov_b32_e32 v0, 0
	v_mov_b32_e32 v1, 0
	;; [unrolled: 1-line block ×4, first 2 shown]
.LBB32_3:                               ; =>This Inner Loop Header: Depth=1
	global_load_dwordx2 v[10:11], v[4:5], off
	global_load_dwordx2 v[12:13], v[2:3], off
	v_add_co_u32_e32 v2, vcc, s6, v2
	v_addc_co_u32_e32 v3, vcc, v3, v8, vcc
	v_add_co_u32_e32 v4, vcc, s8, v4
	s_add_i32 s2, s2, -1
	s_cmp_eq_u32 s2, 0
	v_addc_co_u32_e32 v5, vcc, v5, v9, vcc
	s_waitcnt vmcnt(0)
	v_fma_f64 v[0:1], v[10:11], v[12:13], v[0:1]
	s_cbranch_scc0 .LBB32_3
	s_branch .LBB32_5
.LBB32_4:
	v_mov_b32_e32 v0, 0
	v_mov_b32_e32 v1, 0
.LBB32_5:
	s_load_dwordx2 s[2:3], s[4:5], 0x80
	s_lshl_b64 s[6:7], s[18:19], 3
	s_waitcnt lgkmcnt(0)
	s_add_u32 s0, s0, s6
	s_addc_u32 s1, s1, s7
	v_mov_b32_e32 v4, s1
	v_mul_lo_u32 v2, v7, s2
	v_mad_u64_u32 v[2:3], s[2:3], v6, s3, v[2:3]
	v_ashrrev_i32_e32 v3, 31, v2
	v_lshlrev_b64 v[2:3], 3, v[2:3]
	v_add_co_u32_e32 v2, vcc, s0, v2
	v_addc_co_u32_e32 v3, vcc, v4, v3, vcc
	flat_load_dwordx2 v[4:5], v[2:3]
	s_load_dwordx2 s[0:1], s[4:5], 0x10
	s_waitcnt vmcnt(0) lgkmcnt(0)
	v_mul_f64 v[4:5], s[14:15], v[4:5]
	v_fma_f64 v[0:1], s[0:1], v[0:1], v[4:5]
	flat_store_dwordx2 v[2:3], v[0:1]
.LBB32_6:
	s_endpgm
	.section	.rodata,"a",@progbits
	.p2align	6, 0x0
	.amdhsa_kernel _ZN9rocsolver6v33100L11gemm_kernelIdidPdS2_PKS2_EEvT0_S5_S5_T1_bT2_lS5_S5_lbT3_lS5_S5_lS6_T4_lS5_S5_l
		.amdhsa_group_segment_fixed_size 0
		.amdhsa_private_segment_fixed_size 0
		.amdhsa_kernarg_size 400
		.amdhsa_user_sgpr_count 6
		.amdhsa_user_sgpr_private_segment_buffer 1
		.amdhsa_user_sgpr_dispatch_ptr 0
		.amdhsa_user_sgpr_queue_ptr 0
		.amdhsa_user_sgpr_kernarg_segment_ptr 1
		.amdhsa_user_sgpr_dispatch_id 0
		.amdhsa_user_sgpr_flat_scratch_init 0
		.amdhsa_user_sgpr_private_segment_size 0
		.amdhsa_uses_dynamic_stack 0
		.amdhsa_system_sgpr_private_segment_wavefront_offset 0
		.amdhsa_system_sgpr_workgroup_id_x 1
		.amdhsa_system_sgpr_workgroup_id_y 1
		.amdhsa_system_sgpr_workgroup_id_z 1
		.amdhsa_system_sgpr_workgroup_info 0
		.amdhsa_system_vgpr_workitem_id 1
		.amdhsa_next_free_vgpr 14
		.amdhsa_next_free_sgpr 32
		.amdhsa_reserve_vcc 1
		.amdhsa_reserve_flat_scratch 0
		.amdhsa_float_round_mode_32 0
		.amdhsa_float_round_mode_16_64 0
		.amdhsa_float_denorm_mode_32 3
		.amdhsa_float_denorm_mode_16_64 3
		.amdhsa_dx10_clamp 1
		.amdhsa_ieee_mode 1
		.amdhsa_fp16_overflow 0
		.amdhsa_exception_fp_ieee_invalid_op 0
		.amdhsa_exception_fp_denorm_src 0
		.amdhsa_exception_fp_ieee_div_zero 0
		.amdhsa_exception_fp_ieee_overflow 0
		.amdhsa_exception_fp_ieee_underflow 0
		.amdhsa_exception_fp_ieee_inexact 0
		.amdhsa_exception_int_div_zero 0
	.end_amdhsa_kernel
	.section	.text._ZN9rocsolver6v33100L11gemm_kernelIdidPdS2_PKS2_EEvT0_S5_S5_T1_bT2_lS5_S5_lbT3_lS5_S5_lS6_T4_lS5_S5_l,"axG",@progbits,_ZN9rocsolver6v33100L11gemm_kernelIdidPdS2_PKS2_EEvT0_S5_S5_T1_bT2_lS5_S5_lbT3_lS5_S5_lS6_T4_lS5_S5_l,comdat
.Lfunc_end32:
	.size	_ZN9rocsolver6v33100L11gemm_kernelIdidPdS2_PKS2_EEvT0_S5_S5_T1_bT2_lS5_S5_lbT3_lS5_S5_lS6_T4_lS5_S5_l, .Lfunc_end32-_ZN9rocsolver6v33100L11gemm_kernelIdidPdS2_PKS2_EEvT0_S5_S5_T1_bT2_lS5_S5_lbT3_lS5_S5_lS6_T4_lS5_S5_l
                                        ; -- End function
	.set _ZN9rocsolver6v33100L11gemm_kernelIdidPdS2_PKS2_EEvT0_S5_S5_T1_bT2_lS5_S5_lbT3_lS5_S5_lS6_T4_lS5_S5_l.num_vgpr, 14
	.set _ZN9rocsolver6v33100L11gemm_kernelIdidPdS2_PKS2_EEvT0_S5_S5_T1_bT2_lS5_S5_lbT3_lS5_S5_lS6_T4_lS5_S5_l.num_agpr, 0
	.set _ZN9rocsolver6v33100L11gemm_kernelIdidPdS2_PKS2_EEvT0_S5_S5_T1_bT2_lS5_S5_lbT3_lS5_S5_lS6_T4_lS5_S5_l.numbered_sgpr, 32
	.set _ZN9rocsolver6v33100L11gemm_kernelIdidPdS2_PKS2_EEvT0_S5_S5_T1_bT2_lS5_S5_lbT3_lS5_S5_lS6_T4_lS5_S5_l.num_named_barrier, 0
	.set _ZN9rocsolver6v33100L11gemm_kernelIdidPdS2_PKS2_EEvT0_S5_S5_T1_bT2_lS5_S5_lbT3_lS5_S5_lS6_T4_lS5_S5_l.private_seg_size, 0
	.set _ZN9rocsolver6v33100L11gemm_kernelIdidPdS2_PKS2_EEvT0_S5_S5_T1_bT2_lS5_S5_lbT3_lS5_S5_lS6_T4_lS5_S5_l.uses_vcc, 1
	.set _ZN9rocsolver6v33100L11gemm_kernelIdidPdS2_PKS2_EEvT0_S5_S5_T1_bT2_lS5_S5_lbT3_lS5_S5_lS6_T4_lS5_S5_l.uses_flat_scratch, 0
	.set _ZN9rocsolver6v33100L11gemm_kernelIdidPdS2_PKS2_EEvT0_S5_S5_T1_bT2_lS5_S5_lbT3_lS5_S5_lS6_T4_lS5_S5_l.has_dyn_sized_stack, 0
	.set _ZN9rocsolver6v33100L11gemm_kernelIdidPdS2_PKS2_EEvT0_S5_S5_T1_bT2_lS5_S5_lbT3_lS5_S5_lS6_T4_lS5_S5_l.has_recursion, 0
	.set _ZN9rocsolver6v33100L11gemm_kernelIdidPdS2_PKS2_EEvT0_S5_S5_T1_bT2_lS5_S5_lbT3_lS5_S5_lS6_T4_lS5_S5_l.has_indirect_call, 0
	.section	.AMDGPU.csdata,"",@progbits
; Kernel info:
; codeLenInByte = 520
; TotalNumSgprs: 36
; NumVgprs: 14
; ScratchSize: 0
; MemoryBound: 0
; FloatMode: 240
; IeeeMode: 1
; LDSByteSize: 0 bytes/workgroup (compile time only)
; SGPRBlocks: 4
; VGPRBlocks: 3
; NumSGPRsForWavesPerEU: 36
; NumVGPRsForWavesPerEU: 14
; Occupancy: 10
; WaveLimiterHint : 1
; COMPUTE_PGM_RSRC2:SCRATCH_EN: 0
; COMPUTE_PGM_RSRC2:USER_SGPR: 6
; COMPUTE_PGM_RSRC2:TRAP_HANDLER: 0
; COMPUTE_PGM_RSRC2:TGID_X_EN: 1
; COMPUTE_PGM_RSRC2:TGID_Y_EN: 1
; COMPUTE_PGM_RSRC2:TGID_Z_EN: 1
; COMPUTE_PGM_RSRC2:TIDIG_COMP_CNT: 1
	.section	.text._ZN9rocsolver6v33100L16mfma_gemm_kernelIdlPKdPdS4_S4_EEv18rocblas_operation_S5_T0_S6_S6_T1_T2_lS6_S6_lT3_lS6_S6_lS7_T4_lS6_S6_l,"axG",@progbits,_ZN9rocsolver6v33100L16mfma_gemm_kernelIdlPKdPdS4_S4_EEv18rocblas_operation_S5_T0_S6_S6_T1_T2_lS6_S6_lT3_lS6_S6_lS7_T4_lS6_S6_l,comdat
	.globl	_ZN9rocsolver6v33100L16mfma_gemm_kernelIdlPKdPdS4_S4_EEv18rocblas_operation_S5_T0_S6_S6_T1_T2_lS6_S6_lT3_lS6_S6_lS7_T4_lS6_S6_l ; -- Begin function _ZN9rocsolver6v33100L16mfma_gemm_kernelIdlPKdPdS4_S4_EEv18rocblas_operation_S5_T0_S6_S6_T1_T2_lS6_S6_lT3_lS6_S6_lS7_T4_lS6_S6_l
	.p2align	8
	.type	_ZN9rocsolver6v33100L16mfma_gemm_kernelIdlPKdPdS4_S4_EEv18rocblas_operation_S5_T0_S6_S6_T1_T2_lS6_S6_lT3_lS6_S6_lS7_T4_lS6_S6_l,@function
_ZN9rocsolver6v33100L16mfma_gemm_kernelIdlPKdPdS4_S4_EEv18rocblas_operation_S5_T0_S6_S6_T1_T2_lS6_S6_lT3_lS6_S6_lS7_T4_lS6_S6_l: ; @_ZN9rocsolver6v33100L16mfma_gemm_kernelIdlPKdPdS4_S4_EEv18rocblas_operation_S5_T0_S6_S6_T1_T2_lS6_S6_lT3_lS6_S6_lS7_T4_lS6_S6_l
; %bb.0:
	s_endpgm
	.section	.rodata,"a",@progbits
	.p2align	6, 0x0
	.amdhsa_kernel _ZN9rocsolver6v33100L16mfma_gemm_kernelIdlPKdPdS4_S4_EEv18rocblas_operation_S5_T0_S6_S6_T1_T2_lS6_S6_lT3_lS6_S6_lS7_T4_lS6_S6_l
		.amdhsa_group_segment_fixed_size 0
		.amdhsa_private_segment_fixed_size 0
		.amdhsa_kernarg_size 168
		.amdhsa_user_sgpr_count 6
		.amdhsa_user_sgpr_private_segment_buffer 1
		.amdhsa_user_sgpr_dispatch_ptr 0
		.amdhsa_user_sgpr_queue_ptr 0
		.amdhsa_user_sgpr_kernarg_segment_ptr 1
		.amdhsa_user_sgpr_dispatch_id 0
		.amdhsa_user_sgpr_flat_scratch_init 0
		.amdhsa_user_sgpr_private_segment_size 0
		.amdhsa_uses_dynamic_stack 0
		.amdhsa_system_sgpr_private_segment_wavefront_offset 0
		.amdhsa_system_sgpr_workgroup_id_x 1
		.amdhsa_system_sgpr_workgroup_id_y 0
		.amdhsa_system_sgpr_workgroup_id_z 0
		.amdhsa_system_sgpr_workgroup_info 0
		.amdhsa_system_vgpr_workitem_id 0
		.amdhsa_next_free_vgpr 1
		.amdhsa_next_free_sgpr 0
		.amdhsa_reserve_vcc 0
		.amdhsa_reserve_flat_scratch 0
		.amdhsa_float_round_mode_32 0
		.amdhsa_float_round_mode_16_64 0
		.amdhsa_float_denorm_mode_32 3
		.amdhsa_float_denorm_mode_16_64 3
		.amdhsa_dx10_clamp 1
		.amdhsa_ieee_mode 1
		.amdhsa_fp16_overflow 0
		.amdhsa_exception_fp_ieee_invalid_op 0
		.amdhsa_exception_fp_denorm_src 0
		.amdhsa_exception_fp_ieee_div_zero 0
		.amdhsa_exception_fp_ieee_overflow 0
		.amdhsa_exception_fp_ieee_underflow 0
		.amdhsa_exception_fp_ieee_inexact 0
		.amdhsa_exception_int_div_zero 0
	.end_amdhsa_kernel
	.section	.text._ZN9rocsolver6v33100L16mfma_gemm_kernelIdlPKdPdS4_S4_EEv18rocblas_operation_S5_T0_S6_S6_T1_T2_lS6_S6_lT3_lS6_S6_lS7_T4_lS6_S6_l,"axG",@progbits,_ZN9rocsolver6v33100L16mfma_gemm_kernelIdlPKdPdS4_S4_EEv18rocblas_operation_S5_T0_S6_S6_T1_T2_lS6_S6_lT3_lS6_S6_lS7_T4_lS6_S6_l,comdat
.Lfunc_end33:
	.size	_ZN9rocsolver6v33100L16mfma_gemm_kernelIdlPKdPdS4_S4_EEv18rocblas_operation_S5_T0_S6_S6_T1_T2_lS6_S6_lT3_lS6_S6_lS7_T4_lS6_S6_l, .Lfunc_end33-_ZN9rocsolver6v33100L16mfma_gemm_kernelIdlPKdPdS4_S4_EEv18rocblas_operation_S5_T0_S6_S6_T1_T2_lS6_S6_lT3_lS6_S6_lS7_T4_lS6_S6_l
                                        ; -- End function
	.set _ZN9rocsolver6v33100L16mfma_gemm_kernelIdlPKdPdS4_S4_EEv18rocblas_operation_S5_T0_S6_S6_T1_T2_lS6_S6_lT3_lS6_S6_lS7_T4_lS6_S6_l.num_vgpr, 0
	.set _ZN9rocsolver6v33100L16mfma_gemm_kernelIdlPKdPdS4_S4_EEv18rocblas_operation_S5_T0_S6_S6_T1_T2_lS6_S6_lT3_lS6_S6_lS7_T4_lS6_S6_l.num_agpr, 0
	.set _ZN9rocsolver6v33100L16mfma_gemm_kernelIdlPKdPdS4_S4_EEv18rocblas_operation_S5_T0_S6_S6_T1_T2_lS6_S6_lT3_lS6_S6_lS7_T4_lS6_S6_l.numbered_sgpr, 0
	.set _ZN9rocsolver6v33100L16mfma_gemm_kernelIdlPKdPdS4_S4_EEv18rocblas_operation_S5_T0_S6_S6_T1_T2_lS6_S6_lT3_lS6_S6_lS7_T4_lS6_S6_l.num_named_barrier, 0
	.set _ZN9rocsolver6v33100L16mfma_gemm_kernelIdlPKdPdS4_S4_EEv18rocblas_operation_S5_T0_S6_S6_T1_T2_lS6_S6_lT3_lS6_S6_lS7_T4_lS6_S6_l.private_seg_size, 0
	.set _ZN9rocsolver6v33100L16mfma_gemm_kernelIdlPKdPdS4_S4_EEv18rocblas_operation_S5_T0_S6_S6_T1_T2_lS6_S6_lT3_lS6_S6_lS7_T4_lS6_S6_l.uses_vcc, 0
	.set _ZN9rocsolver6v33100L16mfma_gemm_kernelIdlPKdPdS4_S4_EEv18rocblas_operation_S5_T0_S6_S6_T1_T2_lS6_S6_lT3_lS6_S6_lS7_T4_lS6_S6_l.uses_flat_scratch, 0
	.set _ZN9rocsolver6v33100L16mfma_gemm_kernelIdlPKdPdS4_S4_EEv18rocblas_operation_S5_T0_S6_S6_T1_T2_lS6_S6_lT3_lS6_S6_lS7_T4_lS6_S6_l.has_dyn_sized_stack, 0
	.set _ZN9rocsolver6v33100L16mfma_gemm_kernelIdlPKdPdS4_S4_EEv18rocblas_operation_S5_T0_S6_S6_T1_T2_lS6_S6_lT3_lS6_S6_lS7_T4_lS6_S6_l.has_recursion, 0
	.set _ZN9rocsolver6v33100L16mfma_gemm_kernelIdlPKdPdS4_S4_EEv18rocblas_operation_S5_T0_S6_S6_T1_T2_lS6_S6_lT3_lS6_S6_lS7_T4_lS6_S6_l.has_indirect_call, 0
	.section	.AMDGPU.csdata,"",@progbits
; Kernel info:
; codeLenInByte = 4
; TotalNumSgprs: 4
; NumVgprs: 0
; ScratchSize: 0
; MemoryBound: 0
; FloatMode: 240
; IeeeMode: 1
; LDSByteSize: 0 bytes/workgroup (compile time only)
; SGPRBlocks: 0
; VGPRBlocks: 0
; NumSGPRsForWavesPerEU: 4
; NumVGPRsForWavesPerEU: 1
; Occupancy: 10
; WaveLimiterHint : 0
; COMPUTE_PGM_RSRC2:SCRATCH_EN: 0
; COMPUTE_PGM_RSRC2:USER_SGPR: 6
; COMPUTE_PGM_RSRC2:TRAP_HANDLER: 0
; COMPUTE_PGM_RSRC2:TGID_X_EN: 1
; COMPUTE_PGM_RSRC2:TGID_Y_EN: 0
; COMPUTE_PGM_RSRC2:TGID_Z_EN: 0
; COMPUTE_PGM_RSRC2:TIDIG_COMP_CNT: 0
	.section	.text._ZN9rocsolver6v33100L16mfma_gemm_kernelIdldPdS2_S2_EEv18rocblas_operation_S3_T0_S4_S4_T1_T2_lS4_S4_lT3_lS4_S4_lS5_T4_lS4_S4_l,"axG",@progbits,_ZN9rocsolver6v33100L16mfma_gemm_kernelIdldPdS2_S2_EEv18rocblas_operation_S3_T0_S4_S4_T1_T2_lS4_S4_lT3_lS4_S4_lS5_T4_lS4_S4_l,comdat
	.globl	_ZN9rocsolver6v33100L16mfma_gemm_kernelIdldPdS2_S2_EEv18rocblas_operation_S3_T0_S4_S4_T1_T2_lS4_S4_lT3_lS4_S4_lS5_T4_lS4_S4_l ; -- Begin function _ZN9rocsolver6v33100L16mfma_gemm_kernelIdldPdS2_S2_EEv18rocblas_operation_S3_T0_S4_S4_T1_T2_lS4_S4_lT3_lS4_S4_lS5_T4_lS4_S4_l
	.p2align	8
	.type	_ZN9rocsolver6v33100L16mfma_gemm_kernelIdldPdS2_S2_EEv18rocblas_operation_S3_T0_S4_S4_T1_T2_lS4_S4_lT3_lS4_S4_lS5_T4_lS4_S4_l,@function
_ZN9rocsolver6v33100L16mfma_gemm_kernelIdldPdS2_S2_EEv18rocblas_operation_S3_T0_S4_S4_T1_T2_lS4_S4_lT3_lS4_S4_lS5_T4_lS4_S4_l: ; @_ZN9rocsolver6v33100L16mfma_gemm_kernelIdldPdS2_S2_EEv18rocblas_operation_S3_T0_S4_S4_T1_T2_lS4_S4_lT3_lS4_S4_lS5_T4_lS4_S4_l
; %bb.0:
	s_endpgm
	.section	.rodata,"a",@progbits
	.p2align	6, 0x0
	.amdhsa_kernel _ZN9rocsolver6v33100L16mfma_gemm_kernelIdldPdS2_S2_EEv18rocblas_operation_S3_T0_S4_S4_T1_T2_lS4_S4_lT3_lS4_S4_lS5_T4_lS4_S4_l
		.amdhsa_group_segment_fixed_size 0
		.amdhsa_private_segment_fixed_size 0
		.amdhsa_kernarg_size 168
		.amdhsa_user_sgpr_count 6
		.amdhsa_user_sgpr_private_segment_buffer 1
		.amdhsa_user_sgpr_dispatch_ptr 0
		.amdhsa_user_sgpr_queue_ptr 0
		.amdhsa_user_sgpr_kernarg_segment_ptr 1
		.amdhsa_user_sgpr_dispatch_id 0
		.amdhsa_user_sgpr_flat_scratch_init 0
		.amdhsa_user_sgpr_private_segment_size 0
		.amdhsa_uses_dynamic_stack 0
		.amdhsa_system_sgpr_private_segment_wavefront_offset 0
		.amdhsa_system_sgpr_workgroup_id_x 1
		.amdhsa_system_sgpr_workgroup_id_y 0
		.amdhsa_system_sgpr_workgroup_id_z 0
		.amdhsa_system_sgpr_workgroup_info 0
		.amdhsa_system_vgpr_workitem_id 0
		.amdhsa_next_free_vgpr 1
		.amdhsa_next_free_sgpr 0
		.amdhsa_reserve_vcc 0
		.amdhsa_reserve_flat_scratch 0
		.amdhsa_float_round_mode_32 0
		.amdhsa_float_round_mode_16_64 0
		.amdhsa_float_denorm_mode_32 3
		.amdhsa_float_denorm_mode_16_64 3
		.amdhsa_dx10_clamp 1
		.amdhsa_ieee_mode 1
		.amdhsa_fp16_overflow 0
		.amdhsa_exception_fp_ieee_invalid_op 0
		.amdhsa_exception_fp_denorm_src 0
		.amdhsa_exception_fp_ieee_div_zero 0
		.amdhsa_exception_fp_ieee_overflow 0
		.amdhsa_exception_fp_ieee_underflow 0
		.amdhsa_exception_fp_ieee_inexact 0
		.amdhsa_exception_int_div_zero 0
	.end_amdhsa_kernel
	.section	.text._ZN9rocsolver6v33100L16mfma_gemm_kernelIdldPdS2_S2_EEv18rocblas_operation_S3_T0_S4_S4_T1_T2_lS4_S4_lT3_lS4_S4_lS5_T4_lS4_S4_l,"axG",@progbits,_ZN9rocsolver6v33100L16mfma_gemm_kernelIdldPdS2_S2_EEv18rocblas_operation_S3_T0_S4_S4_T1_T2_lS4_S4_lT3_lS4_S4_lS5_T4_lS4_S4_l,comdat
.Lfunc_end34:
	.size	_ZN9rocsolver6v33100L16mfma_gemm_kernelIdldPdS2_S2_EEv18rocblas_operation_S3_T0_S4_S4_T1_T2_lS4_S4_lT3_lS4_S4_lS5_T4_lS4_S4_l, .Lfunc_end34-_ZN9rocsolver6v33100L16mfma_gemm_kernelIdldPdS2_S2_EEv18rocblas_operation_S3_T0_S4_S4_T1_T2_lS4_S4_lT3_lS4_S4_lS5_T4_lS4_S4_l
                                        ; -- End function
	.set _ZN9rocsolver6v33100L16mfma_gemm_kernelIdldPdS2_S2_EEv18rocblas_operation_S3_T0_S4_S4_T1_T2_lS4_S4_lT3_lS4_S4_lS5_T4_lS4_S4_l.num_vgpr, 0
	.set _ZN9rocsolver6v33100L16mfma_gemm_kernelIdldPdS2_S2_EEv18rocblas_operation_S3_T0_S4_S4_T1_T2_lS4_S4_lT3_lS4_S4_lS5_T4_lS4_S4_l.num_agpr, 0
	.set _ZN9rocsolver6v33100L16mfma_gemm_kernelIdldPdS2_S2_EEv18rocblas_operation_S3_T0_S4_S4_T1_T2_lS4_S4_lT3_lS4_S4_lS5_T4_lS4_S4_l.numbered_sgpr, 0
	.set _ZN9rocsolver6v33100L16mfma_gemm_kernelIdldPdS2_S2_EEv18rocblas_operation_S3_T0_S4_S4_T1_T2_lS4_S4_lT3_lS4_S4_lS5_T4_lS4_S4_l.num_named_barrier, 0
	.set _ZN9rocsolver6v33100L16mfma_gemm_kernelIdldPdS2_S2_EEv18rocblas_operation_S3_T0_S4_S4_T1_T2_lS4_S4_lT3_lS4_S4_lS5_T4_lS4_S4_l.private_seg_size, 0
	.set _ZN9rocsolver6v33100L16mfma_gemm_kernelIdldPdS2_S2_EEv18rocblas_operation_S3_T0_S4_S4_T1_T2_lS4_S4_lT3_lS4_S4_lS5_T4_lS4_S4_l.uses_vcc, 0
	.set _ZN9rocsolver6v33100L16mfma_gemm_kernelIdldPdS2_S2_EEv18rocblas_operation_S3_T0_S4_S4_T1_T2_lS4_S4_lT3_lS4_S4_lS5_T4_lS4_S4_l.uses_flat_scratch, 0
	.set _ZN9rocsolver6v33100L16mfma_gemm_kernelIdldPdS2_S2_EEv18rocblas_operation_S3_T0_S4_S4_T1_T2_lS4_S4_lT3_lS4_S4_lS5_T4_lS4_S4_l.has_dyn_sized_stack, 0
	.set _ZN9rocsolver6v33100L16mfma_gemm_kernelIdldPdS2_S2_EEv18rocblas_operation_S3_T0_S4_S4_T1_T2_lS4_S4_lT3_lS4_S4_lS5_T4_lS4_S4_l.has_recursion, 0
	.set _ZN9rocsolver6v33100L16mfma_gemm_kernelIdldPdS2_S2_EEv18rocblas_operation_S3_T0_S4_S4_T1_T2_lS4_S4_lT3_lS4_S4_lS5_T4_lS4_S4_l.has_indirect_call, 0
	.section	.AMDGPU.csdata,"",@progbits
; Kernel info:
; codeLenInByte = 4
; TotalNumSgprs: 4
; NumVgprs: 0
; ScratchSize: 0
; MemoryBound: 0
; FloatMode: 240
; IeeeMode: 1
; LDSByteSize: 0 bytes/workgroup (compile time only)
; SGPRBlocks: 0
; VGPRBlocks: 0
; NumSGPRsForWavesPerEU: 4
; NumVGPRsForWavesPerEU: 1
; Occupancy: 10
; WaveLimiterHint : 0
; COMPUTE_PGM_RSRC2:SCRATCH_EN: 0
; COMPUTE_PGM_RSRC2:USER_SGPR: 6
; COMPUTE_PGM_RSRC2:TRAP_HANDLER: 0
; COMPUTE_PGM_RSRC2:TGID_X_EN: 1
; COMPUTE_PGM_RSRC2:TGID_Y_EN: 0
; COMPUTE_PGM_RSRC2:TGID_Z_EN: 0
; COMPUTE_PGM_RSRC2:TIDIG_COMP_CNT: 0
	.section	.text._ZN9rocsolver6v33100L11gemm_kernelIdlPKdPdS4_S4_EEvT0_S5_S5_T1_bT2_lS5_S5_lbT3_lS5_S5_lS6_T4_lS5_S5_l,"axG",@progbits,_ZN9rocsolver6v33100L11gemm_kernelIdlPKdPdS4_S4_EEvT0_S5_S5_T1_bT2_lS5_S5_lbT3_lS5_S5_lS6_T4_lS5_S5_l,comdat
	.globl	_ZN9rocsolver6v33100L11gemm_kernelIdlPKdPdS4_S4_EEvT0_S5_S5_T1_bT2_lS5_S5_lbT3_lS5_S5_lS6_T4_lS5_S5_l ; -- Begin function _ZN9rocsolver6v33100L11gemm_kernelIdlPKdPdS4_S4_EEvT0_S5_S5_T1_bT2_lS5_S5_lbT3_lS5_S5_lS6_T4_lS5_S5_l
	.p2align	8
	.type	_ZN9rocsolver6v33100L11gemm_kernelIdlPKdPdS4_S4_EEvT0_S5_S5_T1_bT2_lS5_S5_lbT3_lS5_S5_lS6_T4_lS5_S5_l,@function
_ZN9rocsolver6v33100L11gemm_kernelIdlPKdPdS4_S4_EEvT0_S5_S5_T1_bT2_lS5_S5_lbT3_lS5_S5_lS6_T4_lS5_S5_l: ; @_ZN9rocsolver6v33100L11gemm_kernelIdlPKdPdS4_S4_EEvT0_S5_S5_T1_bT2_lS5_S5_lbT3_lS5_S5_lS6_T4_lS5_S5_l
; %bb.0:
	s_load_dword s0, s[4:5], 0xbc
	s_load_dwordx8 s[24:31], s[4:5], 0x0
	v_mov_b32_e32 v2, v0
	v_mov_b32_e32 v3, 0
	;; [unrolled: 1-line block ×3, first 2 shown]
	s_waitcnt lgkmcnt(0)
	s_lshr_b32 s2, s0, 16
	s_and_b32 s0, s0, 0xffff
	v_mad_u64_u32 v[4:5], s[0:1], s0, v0, v[2:3]
	v_mov_b32_e32 v2, v3
	v_mov_b32_e32 v0, s7
	v_mad_u64_u32 v[0:1], s[0:1], s2, v0, v[1:2]
	v_cmp_gt_i64_e32 vcc, s[24:25], v[4:5]
	v_cmp_gt_i64_e64 s[0:1], s[26:27], v[0:1]
	s_and_b64 s[0:1], vcc, s[0:1]
	s_and_saveexec_b64 s[2:3], s[0:1]
	s_cbranch_execz .LBB35_6
; %bb.1:
	s_load_dwordx16 s[12:27], s[4:5], 0x58
	v_cmp_lt_i64_e64 s[0:1], s[28:29], 1
	s_and_b64 vcc, exec, s[0:1]
	s_cbranch_vccnz .LBB35_4
; %bb.2:
	s_load_dwordx2 s[0:1], s[4:5], 0x48
	s_load_dwordx8 s[36:43], s[4:5], 0x28
	s_waitcnt lgkmcnt(0)
	v_mul_lo_u32 v10, v1, s18
	v_mul_lo_u32 v11, v0, s19
	s_mul_i32 s1, s1, s8
	s_mul_hi_u32 s2, s0, s8
	s_mul_i32 s0, s0, s8
	s_add_i32 s1, s2, s1
	s_lshl_b64 s[0:1], s[0:1], 3
	s_add_u32 s2, s36, s0
	s_addc_u32 s3, s37, s1
	s_lshl_b64 s[0:1], s[38:39], 3
	s_add_u32 s2, s2, s0
	s_addc_u32 s3, s3, s1
	s_mul_i32 s0, s21, s8
	s_mul_hi_u32 s1, s20, s8
	s_add_i32 s1, s1, s0
	s_mul_i32 s0, s20, s8
	s_lshl_b64 s[0:1], s[0:1], 3
	s_add_u32 s6, s12, s0
	s_addc_u32 s7, s13, s1
	v_mul_lo_u32 v6, v5, s40
	v_mul_lo_u32 v7, v4, s41
	v_mad_u64_u32 v[2:3], s[0:1], v4, s40, 0
	s_lshl_b64 s[0:1], s[14:15], 3
	s_add_u32 s6, s6, s0
	s_addc_u32 s7, s7, s1
	v_mad_u64_u32 v[8:9], s[0:1], v0, s18, 0
	v_add3_u32 v3, v3, v7, v6
	v_lshlrev_b64 v[2:3], 3, v[2:3]
	v_mov_b32_e32 v7, s3
	v_add_co_u32_e32 v6, vcc, s2, v2
	v_add3_u32 v9, v9, v11, v10
	v_addc_co_u32_e32 v7, vcc, v7, v3, vcc
	v_lshlrev_b64 v[2:3], 3, v[8:9]
	v_mov_b32_e32 v9, s7
	v_add_co_u32_e32 v8, vcc, s6, v2
	v_addc_co_u32_e32 v9, vcc, v9, v3, vcc
	s_lshl_b64 s[0:1], s[16:17], 3
	s_lshl_b64 s[2:3], s[42:43], 3
	v_mov_b32_e32 v2, 0
	v_mov_b32_e32 v3, 0
	v_mov_b32_e32 v10, s1
	v_mov_b32_e32 v11, s3
.LBB35_3:                               ; =>This Inner Loop Header: Depth=1
	global_load_dwordx2 v[12:13], v[6:7], off
	global_load_dwordx2 v[14:15], v[8:9], off
	v_add_co_u32_e32 v8, vcc, s0, v8
	v_addc_co_u32_e32 v9, vcc, v9, v10, vcc
	s_add_u32 s28, s28, -1
	v_add_co_u32_e32 v6, vcc, s2, v6
	s_addc_u32 s29, s29, -1
	s_cmp_eq_u64 s[28:29], 0
	v_addc_co_u32_e32 v7, vcc, v7, v11, vcc
	s_waitcnt vmcnt(0)
	v_fma_f64 v[2:3], v[12:13], v[14:15], v[2:3]
	s_cbranch_scc0 .LBB35_3
	s_branch .LBB35_5
.LBB35_4:
	v_mov_b32_e32 v2, 0
	v_mov_b32_e32 v3, 0
.LBB35_5:
	s_load_dwordx2 s[0:1], s[30:31], 0x0
	s_waitcnt lgkmcnt(0)
	s_load_dwordx2 s[2:3], s[22:23], 0x0
                                        ; kill: killed $sgpr30_sgpr31
                                        ; kill: killed $sgpr22_sgpr23
	s_load_dwordx2 s[6:7], s[4:5], 0xa8
	s_load_dwordx4 s[12:15], s[4:5], 0x98
	s_waitcnt lgkmcnt(0)
	s_mul_i32 s5, s7, s8
	s_mul_hi_u32 s7, s6, s8
	s_mul_i32 s4, s6, s8
	s_add_i32 s5, s7, s5
	v_mul_lo_u32 v6, v5, s12
	v_mul_lo_u32 v7, v4, s13
	v_mad_u64_u32 v[4:5], s[6:7], v4, s12, 0
	s_lshl_b64 s[4:5], s[4:5], 3
	v_mul_lo_u32 v8, v1, s14
	v_mul_lo_u32 v9, v0, s15
	v_mad_u64_u32 v[0:1], s[6:7], v0, s14, 0
	s_add_u32 s8, s24, s4
	s_addc_u32 s9, s25, s5
	s_lshl_b64 s[4:5], s[26:27], 3
	v_add3_u32 v5, v5, v7, v6
	s_add_u32 s4, s8, s4
	v_lshlrev_b64 v[4:5], 3, v[4:5]
	s_addc_u32 s5, s9, s5
	v_add3_u32 v1, v1, v9, v8
	v_mov_b32_e32 v6, s5
	v_add_co_u32_e32 v4, vcc, s4, v4
	v_lshlrev_b64 v[0:1], 3, v[0:1]
	v_addc_co_u32_e32 v5, vcc, v6, v5, vcc
	v_add_co_u32_e32 v0, vcc, v4, v0
	v_addc_co_u32_e32 v1, vcc, v5, v1, vcc
	global_load_dwordx2 v[4:5], v[0:1], off
	s_waitcnt vmcnt(0)
	v_mul_f64 v[4:5], s[2:3], v[4:5]
	v_fma_f64 v[2:3], s[0:1], v[2:3], v[4:5]
	global_store_dwordx2 v[0:1], v[2:3], off
.LBB35_6:
	s_endpgm
	.section	.rodata,"a",@progbits
	.p2align	6, 0x0
	.amdhsa_kernel _ZN9rocsolver6v33100L11gemm_kernelIdlPKdPdS4_S4_EEvT0_S5_S5_T1_bT2_lS5_S5_lbT3_lS5_S5_lS6_T4_lS5_S5_l
		.amdhsa_group_segment_fixed_size 0
		.amdhsa_private_segment_fixed_size 0
		.amdhsa_kernarg_size 432
		.amdhsa_user_sgpr_count 6
		.amdhsa_user_sgpr_private_segment_buffer 1
		.amdhsa_user_sgpr_dispatch_ptr 0
		.amdhsa_user_sgpr_queue_ptr 0
		.amdhsa_user_sgpr_kernarg_segment_ptr 1
		.amdhsa_user_sgpr_dispatch_id 0
		.amdhsa_user_sgpr_flat_scratch_init 0
		.amdhsa_user_sgpr_private_segment_size 0
		.amdhsa_uses_dynamic_stack 0
		.amdhsa_system_sgpr_private_segment_wavefront_offset 0
		.amdhsa_system_sgpr_workgroup_id_x 1
		.amdhsa_system_sgpr_workgroup_id_y 1
		.amdhsa_system_sgpr_workgroup_id_z 1
		.amdhsa_system_sgpr_workgroup_info 0
		.amdhsa_system_vgpr_workitem_id 1
		.amdhsa_next_free_vgpr 16
		.amdhsa_next_free_sgpr 44
		.amdhsa_reserve_vcc 1
		.amdhsa_reserve_flat_scratch 0
		.amdhsa_float_round_mode_32 0
		.amdhsa_float_round_mode_16_64 0
		.amdhsa_float_denorm_mode_32 3
		.amdhsa_float_denorm_mode_16_64 3
		.amdhsa_dx10_clamp 1
		.amdhsa_ieee_mode 1
		.amdhsa_fp16_overflow 0
		.amdhsa_exception_fp_ieee_invalid_op 0
		.amdhsa_exception_fp_denorm_src 0
		.amdhsa_exception_fp_ieee_div_zero 0
		.amdhsa_exception_fp_ieee_overflow 0
		.amdhsa_exception_fp_ieee_underflow 0
		.amdhsa_exception_fp_ieee_inexact 0
		.amdhsa_exception_int_div_zero 0
	.end_amdhsa_kernel
	.section	.text._ZN9rocsolver6v33100L11gemm_kernelIdlPKdPdS4_S4_EEvT0_S5_S5_T1_bT2_lS5_S5_lbT3_lS5_S5_lS6_T4_lS5_S5_l,"axG",@progbits,_ZN9rocsolver6v33100L11gemm_kernelIdlPKdPdS4_S4_EEvT0_S5_S5_T1_bT2_lS5_S5_lbT3_lS5_S5_lS6_T4_lS5_S5_l,comdat
.Lfunc_end35:
	.size	_ZN9rocsolver6v33100L11gemm_kernelIdlPKdPdS4_S4_EEvT0_S5_S5_T1_bT2_lS5_S5_lbT3_lS5_S5_lS6_T4_lS5_S5_l, .Lfunc_end35-_ZN9rocsolver6v33100L11gemm_kernelIdlPKdPdS4_S4_EEvT0_S5_S5_T1_bT2_lS5_S5_lbT3_lS5_S5_lS6_T4_lS5_S5_l
                                        ; -- End function
	.set _ZN9rocsolver6v33100L11gemm_kernelIdlPKdPdS4_S4_EEvT0_S5_S5_T1_bT2_lS5_S5_lbT3_lS5_S5_lS6_T4_lS5_S5_l.num_vgpr, 16
	.set _ZN9rocsolver6v33100L11gemm_kernelIdlPKdPdS4_S4_EEvT0_S5_S5_T1_bT2_lS5_S5_lbT3_lS5_S5_lS6_T4_lS5_S5_l.num_agpr, 0
	.set _ZN9rocsolver6v33100L11gemm_kernelIdlPKdPdS4_S4_EEvT0_S5_S5_T1_bT2_lS5_S5_lbT3_lS5_S5_lS6_T4_lS5_S5_l.numbered_sgpr, 44
	.set _ZN9rocsolver6v33100L11gemm_kernelIdlPKdPdS4_S4_EEvT0_S5_S5_T1_bT2_lS5_S5_lbT3_lS5_S5_lS6_T4_lS5_S5_l.num_named_barrier, 0
	.set _ZN9rocsolver6v33100L11gemm_kernelIdlPKdPdS4_S4_EEvT0_S5_S5_T1_bT2_lS5_S5_lbT3_lS5_S5_lS6_T4_lS5_S5_l.private_seg_size, 0
	.set _ZN9rocsolver6v33100L11gemm_kernelIdlPKdPdS4_S4_EEvT0_S5_S5_T1_bT2_lS5_S5_lbT3_lS5_S5_lS6_T4_lS5_S5_l.uses_vcc, 1
	.set _ZN9rocsolver6v33100L11gemm_kernelIdlPKdPdS4_S4_EEvT0_S5_S5_T1_bT2_lS5_S5_lbT3_lS5_S5_lS6_T4_lS5_S5_l.uses_flat_scratch, 0
	.set _ZN9rocsolver6v33100L11gemm_kernelIdlPKdPdS4_S4_EEvT0_S5_S5_T1_bT2_lS5_S5_lbT3_lS5_S5_lS6_T4_lS5_S5_l.has_dyn_sized_stack, 0
	.set _ZN9rocsolver6v33100L11gemm_kernelIdlPKdPdS4_S4_EEvT0_S5_S5_T1_bT2_lS5_S5_lbT3_lS5_S5_lS6_T4_lS5_S5_l.has_recursion, 0
	.set _ZN9rocsolver6v33100L11gemm_kernelIdlPKdPdS4_S4_EEvT0_S5_S5_T1_bT2_lS5_S5_lbT3_lS5_S5_lS6_T4_lS5_S5_l.has_indirect_call, 0
	.section	.AMDGPU.csdata,"",@progbits
; Kernel info:
; codeLenInByte = 636
; TotalNumSgprs: 48
; NumVgprs: 16
; ScratchSize: 0
; MemoryBound: 0
; FloatMode: 240
; IeeeMode: 1
; LDSByteSize: 0 bytes/workgroup (compile time only)
; SGPRBlocks: 5
; VGPRBlocks: 3
; NumSGPRsForWavesPerEU: 48
; NumVGPRsForWavesPerEU: 16
; Occupancy: 10
; WaveLimiterHint : 0
; COMPUTE_PGM_RSRC2:SCRATCH_EN: 0
; COMPUTE_PGM_RSRC2:USER_SGPR: 6
; COMPUTE_PGM_RSRC2:TRAP_HANDLER: 0
; COMPUTE_PGM_RSRC2:TGID_X_EN: 1
; COMPUTE_PGM_RSRC2:TGID_Y_EN: 1
; COMPUTE_PGM_RSRC2:TGID_Z_EN: 1
; COMPUTE_PGM_RSRC2:TIDIG_COMP_CNT: 1
	.section	.text._ZN9rocsolver6v33100L11gemm_kernelIdldPdS2_S2_EEvT0_S3_S3_T1_bT2_lS3_S3_lbT3_lS3_S3_lS4_T4_lS3_S3_l,"axG",@progbits,_ZN9rocsolver6v33100L11gemm_kernelIdldPdS2_S2_EEvT0_S3_S3_T1_bT2_lS3_S3_lbT3_lS3_S3_lS4_T4_lS3_S3_l,comdat
	.globl	_ZN9rocsolver6v33100L11gemm_kernelIdldPdS2_S2_EEvT0_S3_S3_T1_bT2_lS3_S3_lbT3_lS3_S3_lS4_T4_lS3_S3_l ; -- Begin function _ZN9rocsolver6v33100L11gemm_kernelIdldPdS2_S2_EEvT0_S3_S3_T1_bT2_lS3_S3_lbT3_lS3_S3_lS4_T4_lS3_S3_l
	.p2align	8
	.type	_ZN9rocsolver6v33100L11gemm_kernelIdldPdS2_S2_EEvT0_S3_S3_T1_bT2_lS3_S3_lbT3_lS3_S3_lS4_T4_lS3_S3_l,@function
_ZN9rocsolver6v33100L11gemm_kernelIdldPdS2_S2_EEvT0_S3_S3_T1_bT2_lS3_S3_lbT3_lS3_S3_lS4_T4_lS3_S3_l: ; @_ZN9rocsolver6v33100L11gemm_kernelIdldPdS2_S2_EEvT0_S3_S3_T1_bT2_lS3_S3_lbT3_lS3_S3_lS4_T4_lS3_S3_l
; %bb.0:
	s_load_dword s0, s[4:5], 0xbc
	s_load_dwordx8 s[24:31], s[4:5], 0x0
	v_mov_b32_e32 v2, v0
	v_mov_b32_e32 v3, 0
	;; [unrolled: 1-line block ×3, first 2 shown]
	s_waitcnt lgkmcnt(0)
	s_lshr_b32 s2, s0, 16
	s_and_b32 s0, s0, 0xffff
	v_mad_u64_u32 v[4:5], s[0:1], s0, v0, v[2:3]
	v_mov_b32_e32 v2, v3
	v_mov_b32_e32 v0, s7
	v_mad_u64_u32 v[0:1], s[0:1], s2, v0, v[1:2]
	v_cmp_gt_i64_e32 vcc, s[24:25], v[4:5]
	v_cmp_gt_i64_e64 s[0:1], s[26:27], v[0:1]
	s_and_b64 s[0:1], vcc, s[0:1]
	s_and_saveexec_b64 s[2:3], s[0:1]
	s_cbranch_execz .LBB36_6
; %bb.1:
	s_load_dwordx16 s[12:27], s[4:5], 0x58
	v_cmp_lt_i64_e64 s[0:1], s[28:29], 1
	s_and_b64 vcc, exec, s[0:1]
	s_cbranch_vccnz .LBB36_4
; %bb.2:
	s_load_dwordx2 s[0:1], s[4:5], 0x48
	s_load_dwordx8 s[36:43], s[4:5], 0x28
	s_waitcnt lgkmcnt(0)
	v_mul_lo_u32 v10, v1, s18
	v_mul_lo_u32 v11, v0, s19
	s_mul_i32 s1, s1, s8
	s_mul_hi_u32 s2, s0, s8
	s_mul_i32 s0, s0, s8
	s_add_i32 s1, s2, s1
	s_lshl_b64 s[0:1], s[0:1], 3
	s_add_u32 s2, s36, s0
	s_addc_u32 s3, s37, s1
	s_lshl_b64 s[0:1], s[38:39], 3
	s_add_u32 s2, s2, s0
	s_addc_u32 s3, s3, s1
	s_mul_i32 s0, s21, s8
	s_mul_hi_u32 s1, s20, s8
	s_add_i32 s1, s1, s0
	s_mul_i32 s0, s20, s8
	s_lshl_b64 s[0:1], s[0:1], 3
	s_add_u32 s6, s12, s0
	s_addc_u32 s7, s13, s1
	v_mul_lo_u32 v6, v5, s40
	v_mul_lo_u32 v7, v4, s41
	v_mad_u64_u32 v[2:3], s[0:1], v4, s40, 0
	s_lshl_b64 s[0:1], s[14:15], 3
	s_add_u32 s6, s6, s0
	s_addc_u32 s7, s7, s1
	v_mad_u64_u32 v[8:9], s[0:1], v0, s18, 0
	v_add3_u32 v3, v3, v7, v6
	v_lshlrev_b64 v[2:3], 3, v[2:3]
	v_mov_b32_e32 v7, s3
	v_add_co_u32_e32 v6, vcc, s2, v2
	v_add3_u32 v9, v9, v11, v10
	v_addc_co_u32_e32 v7, vcc, v7, v3, vcc
	v_lshlrev_b64 v[2:3], 3, v[8:9]
	v_mov_b32_e32 v9, s7
	v_add_co_u32_e32 v8, vcc, s6, v2
	v_addc_co_u32_e32 v9, vcc, v9, v3, vcc
	s_lshl_b64 s[0:1], s[16:17], 3
	s_lshl_b64 s[2:3], s[42:43], 3
	v_mov_b32_e32 v2, 0
	v_mov_b32_e32 v3, 0
	;; [unrolled: 1-line block ×4, first 2 shown]
.LBB36_3:                               ; =>This Inner Loop Header: Depth=1
	global_load_dwordx2 v[12:13], v[6:7], off
	global_load_dwordx2 v[14:15], v[8:9], off
	v_add_co_u32_e32 v8, vcc, s0, v8
	v_addc_co_u32_e32 v9, vcc, v9, v10, vcc
	s_add_u32 s28, s28, -1
	v_add_co_u32_e32 v6, vcc, s2, v6
	s_addc_u32 s29, s29, -1
	s_cmp_eq_u64 s[28:29], 0
	v_addc_co_u32_e32 v7, vcc, v7, v11, vcc
	s_waitcnt vmcnt(0)
	v_fma_f64 v[2:3], v[12:13], v[14:15], v[2:3]
	s_cbranch_scc0 .LBB36_3
	s_branch .LBB36_5
.LBB36_4:
	v_mov_b32_e32 v2, 0
	v_mov_b32_e32 v3, 0
.LBB36_5:
	s_load_dwordx2 s[6:7], s[4:5], 0xa8
	s_load_dwordx4 s[0:3], s[4:5], 0x98
	s_waitcnt lgkmcnt(0)
	s_mul_i32 s5, s7, s8
	s_mul_hi_u32 s7, s6, s8
	v_mul_lo_u32 v6, v5, s0
	v_mul_lo_u32 v7, v4, s1
	v_mad_u64_u32 v[4:5], s[0:1], v4, s0, 0
	s_mul_i32 s4, s6, s8
	s_add_i32 s5, s7, s5
	s_lshl_b64 s[4:5], s[4:5], 3
	v_mul_lo_u32 v8, v1, s2
	v_mul_lo_u32 v9, v0, s3
	v_mad_u64_u32 v[0:1], s[0:1], v0, s2, 0
	s_add_u32 s6, s24, s4
	s_addc_u32 s7, s25, s5
	s_lshl_b64 s[4:5], s[26:27], 3
	v_add3_u32 v5, v5, v7, v6
	s_add_u32 s0, s6, s4
	v_lshlrev_b64 v[4:5], 3, v[4:5]
	s_addc_u32 s1, s7, s5
	v_add3_u32 v1, v1, v9, v8
	v_mov_b32_e32 v6, s1
	v_add_co_u32_e32 v4, vcc, s0, v4
	v_lshlrev_b64 v[0:1], 3, v[0:1]
	v_addc_co_u32_e32 v5, vcc, v6, v5, vcc
	v_add_co_u32_e32 v0, vcc, v4, v0
	v_addc_co_u32_e32 v1, vcc, v5, v1, vcc
	global_load_dwordx2 v[4:5], v[0:1], off
	s_waitcnt vmcnt(0)
	v_mul_f64 v[4:5], s[22:23], v[4:5]
	v_fma_f64 v[2:3], s[30:31], v[2:3], v[4:5]
	global_store_dwordx2 v[0:1], v[2:3], off
.LBB36_6:
	s_endpgm
	.section	.rodata,"a",@progbits
	.p2align	6, 0x0
	.amdhsa_kernel _ZN9rocsolver6v33100L11gemm_kernelIdldPdS2_S2_EEvT0_S3_S3_T1_bT2_lS3_S3_lbT3_lS3_S3_lS4_T4_lS3_S3_l
		.amdhsa_group_segment_fixed_size 0
		.amdhsa_private_segment_fixed_size 0
		.amdhsa_kernarg_size 432
		.amdhsa_user_sgpr_count 6
		.amdhsa_user_sgpr_private_segment_buffer 1
		.amdhsa_user_sgpr_dispatch_ptr 0
		.amdhsa_user_sgpr_queue_ptr 0
		.amdhsa_user_sgpr_kernarg_segment_ptr 1
		.amdhsa_user_sgpr_dispatch_id 0
		.amdhsa_user_sgpr_flat_scratch_init 0
		.amdhsa_user_sgpr_private_segment_size 0
		.amdhsa_uses_dynamic_stack 0
		.amdhsa_system_sgpr_private_segment_wavefront_offset 0
		.amdhsa_system_sgpr_workgroup_id_x 1
		.amdhsa_system_sgpr_workgroup_id_y 1
		.amdhsa_system_sgpr_workgroup_id_z 1
		.amdhsa_system_sgpr_workgroup_info 0
		.amdhsa_system_vgpr_workitem_id 1
		.amdhsa_next_free_vgpr 16
		.amdhsa_next_free_sgpr 44
		.amdhsa_reserve_vcc 1
		.amdhsa_reserve_flat_scratch 0
		.amdhsa_float_round_mode_32 0
		.amdhsa_float_round_mode_16_64 0
		.amdhsa_float_denorm_mode_32 3
		.amdhsa_float_denorm_mode_16_64 3
		.amdhsa_dx10_clamp 1
		.amdhsa_ieee_mode 1
		.amdhsa_fp16_overflow 0
		.amdhsa_exception_fp_ieee_invalid_op 0
		.amdhsa_exception_fp_denorm_src 0
		.amdhsa_exception_fp_ieee_div_zero 0
		.amdhsa_exception_fp_ieee_overflow 0
		.amdhsa_exception_fp_ieee_underflow 0
		.amdhsa_exception_fp_ieee_inexact 0
		.amdhsa_exception_int_div_zero 0
	.end_amdhsa_kernel
	.section	.text._ZN9rocsolver6v33100L11gemm_kernelIdldPdS2_S2_EEvT0_S3_S3_T1_bT2_lS3_S3_lbT3_lS3_S3_lS4_T4_lS3_S3_l,"axG",@progbits,_ZN9rocsolver6v33100L11gemm_kernelIdldPdS2_S2_EEvT0_S3_S3_T1_bT2_lS3_S3_lbT3_lS3_S3_lS4_T4_lS3_S3_l,comdat
.Lfunc_end36:
	.size	_ZN9rocsolver6v33100L11gemm_kernelIdldPdS2_S2_EEvT0_S3_S3_T1_bT2_lS3_S3_lbT3_lS3_S3_lS4_T4_lS3_S3_l, .Lfunc_end36-_ZN9rocsolver6v33100L11gemm_kernelIdldPdS2_S2_EEvT0_S3_S3_T1_bT2_lS3_S3_lbT3_lS3_S3_lS4_T4_lS3_S3_l
                                        ; -- End function
	.set _ZN9rocsolver6v33100L11gemm_kernelIdldPdS2_S2_EEvT0_S3_S3_T1_bT2_lS3_S3_lbT3_lS3_S3_lS4_T4_lS3_S3_l.num_vgpr, 16
	.set _ZN9rocsolver6v33100L11gemm_kernelIdldPdS2_S2_EEvT0_S3_S3_T1_bT2_lS3_S3_lbT3_lS3_S3_lS4_T4_lS3_S3_l.num_agpr, 0
	.set _ZN9rocsolver6v33100L11gemm_kernelIdldPdS2_S2_EEvT0_S3_S3_T1_bT2_lS3_S3_lbT3_lS3_S3_lS4_T4_lS3_S3_l.numbered_sgpr, 44
	.set _ZN9rocsolver6v33100L11gemm_kernelIdldPdS2_S2_EEvT0_S3_S3_T1_bT2_lS3_S3_lbT3_lS3_S3_lS4_T4_lS3_S3_l.num_named_barrier, 0
	.set _ZN9rocsolver6v33100L11gemm_kernelIdldPdS2_S2_EEvT0_S3_S3_T1_bT2_lS3_S3_lbT3_lS3_S3_lS4_T4_lS3_S3_l.private_seg_size, 0
	.set _ZN9rocsolver6v33100L11gemm_kernelIdldPdS2_S2_EEvT0_S3_S3_T1_bT2_lS3_S3_lbT3_lS3_S3_lS4_T4_lS3_S3_l.uses_vcc, 1
	.set _ZN9rocsolver6v33100L11gemm_kernelIdldPdS2_S2_EEvT0_S3_S3_T1_bT2_lS3_S3_lbT3_lS3_S3_lS4_T4_lS3_S3_l.uses_flat_scratch, 0
	.set _ZN9rocsolver6v33100L11gemm_kernelIdldPdS2_S2_EEvT0_S3_S3_T1_bT2_lS3_S3_lbT3_lS3_S3_lS4_T4_lS3_S3_l.has_dyn_sized_stack, 0
	.set _ZN9rocsolver6v33100L11gemm_kernelIdldPdS2_S2_EEvT0_S3_S3_T1_bT2_lS3_S3_lbT3_lS3_S3_lS4_T4_lS3_S3_l.has_recursion, 0
	.set _ZN9rocsolver6v33100L11gemm_kernelIdldPdS2_S2_EEvT0_S3_S3_T1_bT2_lS3_S3_lbT3_lS3_S3_lS4_T4_lS3_S3_l.has_indirect_call, 0
	.section	.AMDGPU.csdata,"",@progbits
; Kernel info:
; codeLenInByte = 616
; TotalNumSgprs: 48
; NumVgprs: 16
; ScratchSize: 0
; MemoryBound: 0
; FloatMode: 240
; IeeeMode: 1
; LDSByteSize: 0 bytes/workgroup (compile time only)
; SGPRBlocks: 5
; VGPRBlocks: 3
; NumSGPRsForWavesPerEU: 48
; NumVGPRsForWavesPerEU: 16
; Occupancy: 10
; WaveLimiterHint : 0
; COMPUTE_PGM_RSRC2:SCRATCH_EN: 0
; COMPUTE_PGM_RSRC2:USER_SGPR: 6
; COMPUTE_PGM_RSRC2:TRAP_HANDLER: 0
; COMPUTE_PGM_RSRC2:TGID_X_EN: 1
; COMPUTE_PGM_RSRC2:TGID_Y_EN: 1
; COMPUTE_PGM_RSRC2:TGID_Z_EN: 1
; COMPUTE_PGM_RSRC2:TIDIG_COMP_CNT: 1
	.section	.text._ZN9rocsolver6v33100L16mfma_gemm_kernelIdlPKdPKPdS6_S6_EEv18rocblas_operation_S7_T0_S8_S8_T1_T2_lS8_S8_lT3_lS8_S8_lS9_T4_lS8_S8_l,"axG",@progbits,_ZN9rocsolver6v33100L16mfma_gemm_kernelIdlPKdPKPdS6_S6_EEv18rocblas_operation_S7_T0_S8_S8_T1_T2_lS8_S8_lT3_lS8_S8_lS9_T4_lS8_S8_l,comdat
	.globl	_ZN9rocsolver6v33100L16mfma_gemm_kernelIdlPKdPKPdS6_S6_EEv18rocblas_operation_S7_T0_S8_S8_T1_T2_lS8_S8_lT3_lS8_S8_lS9_T4_lS8_S8_l ; -- Begin function _ZN9rocsolver6v33100L16mfma_gemm_kernelIdlPKdPKPdS6_S6_EEv18rocblas_operation_S7_T0_S8_S8_T1_T2_lS8_S8_lT3_lS8_S8_lS9_T4_lS8_S8_l
	.p2align	8
	.type	_ZN9rocsolver6v33100L16mfma_gemm_kernelIdlPKdPKPdS6_S6_EEv18rocblas_operation_S7_T0_S8_S8_T1_T2_lS8_S8_lT3_lS8_S8_lS9_T4_lS8_S8_l,@function
_ZN9rocsolver6v33100L16mfma_gemm_kernelIdlPKdPKPdS6_S6_EEv18rocblas_operation_S7_T0_S8_S8_T1_T2_lS8_S8_lT3_lS8_S8_lS9_T4_lS8_S8_l: ; @_ZN9rocsolver6v33100L16mfma_gemm_kernelIdlPKdPKPdS6_S6_EEv18rocblas_operation_S7_T0_S8_S8_T1_T2_lS8_S8_lT3_lS8_S8_lS9_T4_lS8_S8_l
; %bb.0:
	s_endpgm
	.section	.rodata,"a",@progbits
	.p2align	6, 0x0
	.amdhsa_kernel _ZN9rocsolver6v33100L16mfma_gemm_kernelIdlPKdPKPdS6_S6_EEv18rocblas_operation_S7_T0_S8_S8_T1_T2_lS8_S8_lT3_lS8_S8_lS9_T4_lS8_S8_l
		.amdhsa_group_segment_fixed_size 0
		.amdhsa_private_segment_fixed_size 0
		.amdhsa_kernarg_size 168
		.amdhsa_user_sgpr_count 6
		.amdhsa_user_sgpr_private_segment_buffer 1
		.amdhsa_user_sgpr_dispatch_ptr 0
		.amdhsa_user_sgpr_queue_ptr 0
		.amdhsa_user_sgpr_kernarg_segment_ptr 1
		.amdhsa_user_sgpr_dispatch_id 0
		.amdhsa_user_sgpr_flat_scratch_init 0
		.amdhsa_user_sgpr_private_segment_size 0
		.amdhsa_uses_dynamic_stack 0
		.amdhsa_system_sgpr_private_segment_wavefront_offset 0
		.amdhsa_system_sgpr_workgroup_id_x 1
		.amdhsa_system_sgpr_workgroup_id_y 0
		.amdhsa_system_sgpr_workgroup_id_z 0
		.amdhsa_system_sgpr_workgroup_info 0
		.amdhsa_system_vgpr_workitem_id 0
		.amdhsa_next_free_vgpr 1
		.amdhsa_next_free_sgpr 0
		.amdhsa_reserve_vcc 0
		.amdhsa_reserve_flat_scratch 0
		.amdhsa_float_round_mode_32 0
		.amdhsa_float_round_mode_16_64 0
		.amdhsa_float_denorm_mode_32 3
		.amdhsa_float_denorm_mode_16_64 3
		.amdhsa_dx10_clamp 1
		.amdhsa_ieee_mode 1
		.amdhsa_fp16_overflow 0
		.amdhsa_exception_fp_ieee_invalid_op 0
		.amdhsa_exception_fp_denorm_src 0
		.amdhsa_exception_fp_ieee_div_zero 0
		.amdhsa_exception_fp_ieee_overflow 0
		.amdhsa_exception_fp_ieee_underflow 0
		.amdhsa_exception_fp_ieee_inexact 0
		.amdhsa_exception_int_div_zero 0
	.end_amdhsa_kernel
	.section	.text._ZN9rocsolver6v33100L16mfma_gemm_kernelIdlPKdPKPdS6_S6_EEv18rocblas_operation_S7_T0_S8_S8_T1_T2_lS8_S8_lT3_lS8_S8_lS9_T4_lS8_S8_l,"axG",@progbits,_ZN9rocsolver6v33100L16mfma_gemm_kernelIdlPKdPKPdS6_S6_EEv18rocblas_operation_S7_T0_S8_S8_T1_T2_lS8_S8_lT3_lS8_S8_lS9_T4_lS8_S8_l,comdat
.Lfunc_end37:
	.size	_ZN9rocsolver6v33100L16mfma_gemm_kernelIdlPKdPKPdS6_S6_EEv18rocblas_operation_S7_T0_S8_S8_T1_T2_lS8_S8_lT3_lS8_S8_lS9_T4_lS8_S8_l, .Lfunc_end37-_ZN9rocsolver6v33100L16mfma_gemm_kernelIdlPKdPKPdS6_S6_EEv18rocblas_operation_S7_T0_S8_S8_T1_T2_lS8_S8_lT3_lS8_S8_lS9_T4_lS8_S8_l
                                        ; -- End function
	.set _ZN9rocsolver6v33100L16mfma_gemm_kernelIdlPKdPKPdS6_S6_EEv18rocblas_operation_S7_T0_S8_S8_T1_T2_lS8_S8_lT3_lS8_S8_lS9_T4_lS8_S8_l.num_vgpr, 0
	.set _ZN9rocsolver6v33100L16mfma_gemm_kernelIdlPKdPKPdS6_S6_EEv18rocblas_operation_S7_T0_S8_S8_T1_T2_lS8_S8_lT3_lS8_S8_lS9_T4_lS8_S8_l.num_agpr, 0
	.set _ZN9rocsolver6v33100L16mfma_gemm_kernelIdlPKdPKPdS6_S6_EEv18rocblas_operation_S7_T0_S8_S8_T1_T2_lS8_S8_lT3_lS8_S8_lS9_T4_lS8_S8_l.numbered_sgpr, 0
	.set _ZN9rocsolver6v33100L16mfma_gemm_kernelIdlPKdPKPdS6_S6_EEv18rocblas_operation_S7_T0_S8_S8_T1_T2_lS8_S8_lT3_lS8_S8_lS9_T4_lS8_S8_l.num_named_barrier, 0
	.set _ZN9rocsolver6v33100L16mfma_gemm_kernelIdlPKdPKPdS6_S6_EEv18rocblas_operation_S7_T0_S8_S8_T1_T2_lS8_S8_lT3_lS8_S8_lS9_T4_lS8_S8_l.private_seg_size, 0
	.set _ZN9rocsolver6v33100L16mfma_gemm_kernelIdlPKdPKPdS6_S6_EEv18rocblas_operation_S7_T0_S8_S8_T1_T2_lS8_S8_lT3_lS8_S8_lS9_T4_lS8_S8_l.uses_vcc, 0
	.set _ZN9rocsolver6v33100L16mfma_gemm_kernelIdlPKdPKPdS6_S6_EEv18rocblas_operation_S7_T0_S8_S8_T1_T2_lS8_S8_lT3_lS8_S8_lS9_T4_lS8_S8_l.uses_flat_scratch, 0
	.set _ZN9rocsolver6v33100L16mfma_gemm_kernelIdlPKdPKPdS6_S6_EEv18rocblas_operation_S7_T0_S8_S8_T1_T2_lS8_S8_lT3_lS8_S8_lS9_T4_lS8_S8_l.has_dyn_sized_stack, 0
	.set _ZN9rocsolver6v33100L16mfma_gemm_kernelIdlPKdPKPdS6_S6_EEv18rocblas_operation_S7_T0_S8_S8_T1_T2_lS8_S8_lT3_lS8_S8_lS9_T4_lS8_S8_l.has_recursion, 0
	.set _ZN9rocsolver6v33100L16mfma_gemm_kernelIdlPKdPKPdS6_S6_EEv18rocblas_operation_S7_T0_S8_S8_T1_T2_lS8_S8_lT3_lS8_S8_lS9_T4_lS8_S8_l.has_indirect_call, 0
	.section	.AMDGPU.csdata,"",@progbits
; Kernel info:
; codeLenInByte = 4
; TotalNumSgprs: 4
; NumVgprs: 0
; ScratchSize: 0
; MemoryBound: 0
; FloatMode: 240
; IeeeMode: 1
; LDSByteSize: 0 bytes/workgroup (compile time only)
; SGPRBlocks: 0
; VGPRBlocks: 0
; NumSGPRsForWavesPerEU: 4
; NumVGPRsForWavesPerEU: 1
; Occupancy: 10
; WaveLimiterHint : 0
; COMPUTE_PGM_RSRC2:SCRATCH_EN: 0
; COMPUTE_PGM_RSRC2:USER_SGPR: 6
; COMPUTE_PGM_RSRC2:TRAP_HANDLER: 0
; COMPUTE_PGM_RSRC2:TGID_X_EN: 1
; COMPUTE_PGM_RSRC2:TGID_Y_EN: 0
; COMPUTE_PGM_RSRC2:TGID_Z_EN: 0
; COMPUTE_PGM_RSRC2:TIDIG_COMP_CNT: 0
	.section	.text._ZN9rocsolver6v33100L16mfma_gemm_kernelIdldPKPdS4_S4_EEv18rocblas_operation_S5_T0_S6_S6_T1_T2_lS6_S6_lT3_lS6_S6_lS7_T4_lS6_S6_l,"axG",@progbits,_ZN9rocsolver6v33100L16mfma_gemm_kernelIdldPKPdS4_S4_EEv18rocblas_operation_S5_T0_S6_S6_T1_T2_lS6_S6_lT3_lS6_S6_lS7_T4_lS6_S6_l,comdat
	.globl	_ZN9rocsolver6v33100L16mfma_gemm_kernelIdldPKPdS4_S4_EEv18rocblas_operation_S5_T0_S6_S6_T1_T2_lS6_S6_lT3_lS6_S6_lS7_T4_lS6_S6_l ; -- Begin function _ZN9rocsolver6v33100L16mfma_gemm_kernelIdldPKPdS4_S4_EEv18rocblas_operation_S5_T0_S6_S6_T1_T2_lS6_S6_lT3_lS6_S6_lS7_T4_lS6_S6_l
	.p2align	8
	.type	_ZN9rocsolver6v33100L16mfma_gemm_kernelIdldPKPdS4_S4_EEv18rocblas_operation_S5_T0_S6_S6_T1_T2_lS6_S6_lT3_lS6_S6_lS7_T4_lS6_S6_l,@function
_ZN9rocsolver6v33100L16mfma_gemm_kernelIdldPKPdS4_S4_EEv18rocblas_operation_S5_T0_S6_S6_T1_T2_lS6_S6_lT3_lS6_S6_lS7_T4_lS6_S6_l: ; @_ZN9rocsolver6v33100L16mfma_gemm_kernelIdldPKPdS4_S4_EEv18rocblas_operation_S5_T0_S6_S6_T1_T2_lS6_S6_lT3_lS6_S6_lS7_T4_lS6_S6_l
; %bb.0:
	s_endpgm
	.section	.rodata,"a",@progbits
	.p2align	6, 0x0
	.amdhsa_kernel _ZN9rocsolver6v33100L16mfma_gemm_kernelIdldPKPdS4_S4_EEv18rocblas_operation_S5_T0_S6_S6_T1_T2_lS6_S6_lT3_lS6_S6_lS7_T4_lS6_S6_l
		.amdhsa_group_segment_fixed_size 0
		.amdhsa_private_segment_fixed_size 0
		.amdhsa_kernarg_size 168
		.amdhsa_user_sgpr_count 6
		.amdhsa_user_sgpr_private_segment_buffer 1
		.amdhsa_user_sgpr_dispatch_ptr 0
		.amdhsa_user_sgpr_queue_ptr 0
		.amdhsa_user_sgpr_kernarg_segment_ptr 1
		.amdhsa_user_sgpr_dispatch_id 0
		.amdhsa_user_sgpr_flat_scratch_init 0
		.amdhsa_user_sgpr_private_segment_size 0
		.amdhsa_uses_dynamic_stack 0
		.amdhsa_system_sgpr_private_segment_wavefront_offset 0
		.amdhsa_system_sgpr_workgroup_id_x 1
		.amdhsa_system_sgpr_workgroup_id_y 0
		.amdhsa_system_sgpr_workgroup_id_z 0
		.amdhsa_system_sgpr_workgroup_info 0
		.amdhsa_system_vgpr_workitem_id 0
		.amdhsa_next_free_vgpr 1
		.amdhsa_next_free_sgpr 0
		.amdhsa_reserve_vcc 0
		.amdhsa_reserve_flat_scratch 0
		.amdhsa_float_round_mode_32 0
		.amdhsa_float_round_mode_16_64 0
		.amdhsa_float_denorm_mode_32 3
		.amdhsa_float_denorm_mode_16_64 3
		.amdhsa_dx10_clamp 1
		.amdhsa_ieee_mode 1
		.amdhsa_fp16_overflow 0
		.amdhsa_exception_fp_ieee_invalid_op 0
		.amdhsa_exception_fp_denorm_src 0
		.amdhsa_exception_fp_ieee_div_zero 0
		.amdhsa_exception_fp_ieee_overflow 0
		.amdhsa_exception_fp_ieee_underflow 0
		.amdhsa_exception_fp_ieee_inexact 0
		.amdhsa_exception_int_div_zero 0
	.end_amdhsa_kernel
	.section	.text._ZN9rocsolver6v33100L16mfma_gemm_kernelIdldPKPdS4_S4_EEv18rocblas_operation_S5_T0_S6_S6_T1_T2_lS6_S6_lT3_lS6_S6_lS7_T4_lS6_S6_l,"axG",@progbits,_ZN9rocsolver6v33100L16mfma_gemm_kernelIdldPKPdS4_S4_EEv18rocblas_operation_S5_T0_S6_S6_T1_T2_lS6_S6_lT3_lS6_S6_lS7_T4_lS6_S6_l,comdat
.Lfunc_end38:
	.size	_ZN9rocsolver6v33100L16mfma_gemm_kernelIdldPKPdS4_S4_EEv18rocblas_operation_S5_T0_S6_S6_T1_T2_lS6_S6_lT3_lS6_S6_lS7_T4_lS6_S6_l, .Lfunc_end38-_ZN9rocsolver6v33100L16mfma_gemm_kernelIdldPKPdS4_S4_EEv18rocblas_operation_S5_T0_S6_S6_T1_T2_lS6_S6_lT3_lS6_S6_lS7_T4_lS6_S6_l
                                        ; -- End function
	.set _ZN9rocsolver6v33100L16mfma_gemm_kernelIdldPKPdS4_S4_EEv18rocblas_operation_S5_T0_S6_S6_T1_T2_lS6_S6_lT3_lS6_S6_lS7_T4_lS6_S6_l.num_vgpr, 0
	.set _ZN9rocsolver6v33100L16mfma_gemm_kernelIdldPKPdS4_S4_EEv18rocblas_operation_S5_T0_S6_S6_T1_T2_lS6_S6_lT3_lS6_S6_lS7_T4_lS6_S6_l.num_agpr, 0
	.set _ZN9rocsolver6v33100L16mfma_gemm_kernelIdldPKPdS4_S4_EEv18rocblas_operation_S5_T0_S6_S6_T1_T2_lS6_S6_lT3_lS6_S6_lS7_T4_lS6_S6_l.numbered_sgpr, 0
	.set _ZN9rocsolver6v33100L16mfma_gemm_kernelIdldPKPdS4_S4_EEv18rocblas_operation_S5_T0_S6_S6_T1_T2_lS6_S6_lT3_lS6_S6_lS7_T4_lS6_S6_l.num_named_barrier, 0
	.set _ZN9rocsolver6v33100L16mfma_gemm_kernelIdldPKPdS4_S4_EEv18rocblas_operation_S5_T0_S6_S6_T1_T2_lS6_S6_lT3_lS6_S6_lS7_T4_lS6_S6_l.private_seg_size, 0
	.set _ZN9rocsolver6v33100L16mfma_gemm_kernelIdldPKPdS4_S4_EEv18rocblas_operation_S5_T0_S6_S6_T1_T2_lS6_S6_lT3_lS6_S6_lS7_T4_lS6_S6_l.uses_vcc, 0
	.set _ZN9rocsolver6v33100L16mfma_gemm_kernelIdldPKPdS4_S4_EEv18rocblas_operation_S5_T0_S6_S6_T1_T2_lS6_S6_lT3_lS6_S6_lS7_T4_lS6_S6_l.uses_flat_scratch, 0
	.set _ZN9rocsolver6v33100L16mfma_gemm_kernelIdldPKPdS4_S4_EEv18rocblas_operation_S5_T0_S6_S6_T1_T2_lS6_S6_lT3_lS6_S6_lS7_T4_lS6_S6_l.has_dyn_sized_stack, 0
	.set _ZN9rocsolver6v33100L16mfma_gemm_kernelIdldPKPdS4_S4_EEv18rocblas_operation_S5_T0_S6_S6_T1_T2_lS6_S6_lT3_lS6_S6_lS7_T4_lS6_S6_l.has_recursion, 0
	.set _ZN9rocsolver6v33100L16mfma_gemm_kernelIdldPKPdS4_S4_EEv18rocblas_operation_S5_T0_S6_S6_T1_T2_lS6_S6_lT3_lS6_S6_lS7_T4_lS6_S6_l.has_indirect_call, 0
	.section	.AMDGPU.csdata,"",@progbits
; Kernel info:
; codeLenInByte = 4
; TotalNumSgprs: 4
; NumVgprs: 0
; ScratchSize: 0
; MemoryBound: 0
; FloatMode: 240
; IeeeMode: 1
; LDSByteSize: 0 bytes/workgroup (compile time only)
; SGPRBlocks: 0
; VGPRBlocks: 0
; NumSGPRsForWavesPerEU: 4
; NumVGPRsForWavesPerEU: 1
; Occupancy: 10
; WaveLimiterHint : 0
; COMPUTE_PGM_RSRC2:SCRATCH_EN: 0
; COMPUTE_PGM_RSRC2:USER_SGPR: 6
; COMPUTE_PGM_RSRC2:TRAP_HANDLER: 0
; COMPUTE_PGM_RSRC2:TGID_X_EN: 1
; COMPUTE_PGM_RSRC2:TGID_Y_EN: 0
; COMPUTE_PGM_RSRC2:TGID_Z_EN: 0
; COMPUTE_PGM_RSRC2:TIDIG_COMP_CNT: 0
	.section	.text._ZN9rocsolver6v33100L11gemm_kernelIdlPKdPKPdS6_S6_EEvT0_S7_S7_T1_bT2_lS7_S7_lbT3_lS7_S7_lS8_T4_lS7_S7_l,"axG",@progbits,_ZN9rocsolver6v33100L11gemm_kernelIdlPKdPKPdS6_S6_EEvT0_S7_S7_T1_bT2_lS7_S7_lbT3_lS7_S7_lS8_T4_lS7_S7_l,comdat
	.globl	_ZN9rocsolver6v33100L11gemm_kernelIdlPKdPKPdS6_S6_EEvT0_S7_S7_T1_bT2_lS7_S7_lbT3_lS7_S7_lS8_T4_lS7_S7_l ; -- Begin function _ZN9rocsolver6v33100L11gemm_kernelIdlPKdPKPdS6_S6_EEvT0_S7_S7_T1_bT2_lS7_S7_lbT3_lS7_S7_lS8_T4_lS7_S7_l
	.p2align	8
	.type	_ZN9rocsolver6v33100L11gemm_kernelIdlPKdPKPdS6_S6_EEvT0_S7_S7_T1_bT2_lS7_S7_lbT3_lS7_S7_lS8_T4_lS7_S7_l,@function
_ZN9rocsolver6v33100L11gemm_kernelIdlPKdPKPdS6_S6_EEvT0_S7_S7_T1_bT2_lS7_S7_lbT3_lS7_S7_lS8_T4_lS7_S7_l: ; @_ZN9rocsolver6v33100L11gemm_kernelIdlPKdPKPdS6_S6_EEvT0_S7_S7_T1_bT2_lS7_S7_lbT3_lS7_S7_lS8_T4_lS7_S7_l
; %bb.0:
	s_load_dword s0, s[4:5], 0xbc
	s_load_dwordx8 s[12:19], s[4:5], 0x0
	v_mov_b32_e32 v2, v0
	v_mov_b32_e32 v3, 0
	;; [unrolled: 1-line block ×3, first 2 shown]
	s_waitcnt lgkmcnt(0)
	s_lshr_b32 s2, s0, 16
	s_and_b32 s0, s0, 0xffff
	v_mad_u64_u32 v[4:5], s[0:1], s0, v0, v[2:3]
	v_mov_b32_e32 v2, v3
	v_mov_b32_e32 v0, s7
	v_mad_u64_u32 v[0:1], s[0:1], s2, v0, v[1:2]
	v_cmp_gt_i64_e32 vcc, s[12:13], v[4:5]
	v_cmp_gt_i64_e64 s[0:1], s[14:15], v[0:1]
	s_and_b64 s[0:1], vcc, s[0:1]
	s_and_saveexec_b64 s[2:3], s[0:1]
	s_cbranch_execz .LBB39_6
; %bb.1:
	s_load_dwordx8 s[20:27], s[4:5], 0x80
	s_load_dwordx2 s[0:1], s[4:5], 0xa0
	s_mov_b32 s9, 0
	s_lshl_b64 s[6:7], s[8:9], 3
	v_cmp_lt_i64_e64 s[8:9], s[16:17], 1
	s_waitcnt lgkmcnt(0)
	s_add_u32 s2, s22, s6
	s_addc_u32 s3, s23, s7
	s_load_dwordx2 s[2:3], s[2:3], 0x0
	s_and_b64 vcc, exec, s[8:9]
	s_cbranch_vccnz .LBB39_4
; %bb.2:
	s_load_dwordx8 s[8:15], s[4:5], 0x28
	s_load_dwordx8 s[36:43], s[4:5], 0x58
	s_waitcnt lgkmcnt(0)
	s_add_u32 s4, s8, s6
	s_addc_u32 s5, s9, s7
	s_load_dwordx2 s[4:5], s[4:5], 0x0
	s_add_u32 s6, s36, s6
	s_addc_u32 s7, s37, s7
	s_load_dwordx2 s[6:7], s[6:7], 0x0
	s_lshl_b64 s[8:9], s[10:11], 3
	s_waitcnt lgkmcnt(0)
	s_add_u32 s8, s4, s8
	v_mul_lo_u32 v6, v5, s12
	v_mul_lo_u32 v7, v4, s13
	s_addc_u32 s9, s5, s9
	v_mad_u64_u32 v[2:3], s[4:5], v4, s12, 0
	s_lshl_b64 s[4:5], s[38:39], 3
	s_add_u32 s6, s6, s4
	s_addc_u32 s7, s7, s5
	v_mul_lo_u32 v10, v1, s42
	v_mul_lo_u32 v11, v0, s43
	v_mad_u64_u32 v[8:9], s[4:5], v0, s42, 0
	v_add3_u32 v3, v3, v7, v6
	v_lshlrev_b64 v[2:3], 3, v[2:3]
	v_mov_b32_e32 v7, s9
	v_add_co_u32_e32 v6, vcc, s8, v2
	v_add3_u32 v9, v9, v11, v10
	v_addc_co_u32_e32 v7, vcc, v7, v3, vcc
	v_lshlrev_b64 v[2:3], 3, v[8:9]
	v_mov_b32_e32 v9, s7
	v_add_co_u32_e32 v8, vcc, s6, v2
	v_addc_co_u32_e32 v9, vcc, v9, v3, vcc
	s_lshl_b64 s[4:5], s[40:41], 3
	s_lshl_b64 s[6:7], s[14:15], 3
	v_mov_b32_e32 v2, 0
	v_mov_b32_e32 v3, 0
	;; [unrolled: 1-line block ×4, first 2 shown]
.LBB39_3:                               ; =>This Inner Loop Header: Depth=1
	flat_load_dwordx2 v[12:13], v[6:7]
	flat_load_dwordx2 v[14:15], v[8:9]
	v_add_co_u32_e32 v8, vcc, s4, v8
	v_addc_co_u32_e32 v9, vcc, v9, v10, vcc
	s_add_u32 s16, s16, -1
	v_add_co_u32_e32 v6, vcc, s6, v6
	s_addc_u32 s17, s17, -1
	s_cmp_eq_u64 s[16:17], 0
	v_addc_co_u32_e32 v7, vcc, v7, v11, vcc
	s_waitcnt vmcnt(0) lgkmcnt(0)
	v_fma_f64 v[2:3], v[12:13], v[14:15], v[2:3]
	s_cbranch_scc0 .LBB39_3
	s_branch .LBB39_5
.LBB39_4:
	v_mov_b32_e32 v2, 0
	v_mov_b32_e32 v3, 0
.LBB39_5:
	v_mul_lo_u32 v6, v5, s26
	v_mul_lo_u32 v7, v4, s27
	v_mad_u64_u32 v[4:5], s[10:11], v4, s26, 0
	v_mul_lo_u32 v8, v1, s0
	v_mul_lo_u32 v9, v0, s1
	v_mad_u64_u32 v[0:1], s[0:1], v0, s0, 0
	s_lshl_b64 s[8:9], s[24:25], 3
	v_add3_u32 v5, v5, v7, v6
	s_waitcnt lgkmcnt(0)
	s_add_u32 s0, s2, s8
	v_lshlrev_b64 v[4:5], 3, v[4:5]
	s_addc_u32 s1, s3, s9
	v_add3_u32 v1, v1, v9, v8
	v_mov_b32_e32 v6, s1
	v_add_co_u32_e32 v4, vcc, s0, v4
	v_lshlrev_b64 v[0:1], 3, v[0:1]
	v_addc_co_u32_e32 v5, vcc, v6, v5, vcc
	v_add_co_u32_e32 v0, vcc, v4, v0
	v_addc_co_u32_e32 v1, vcc, v5, v1, vcc
	s_load_dwordx2 s[4:5], s[18:19], 0x0
	s_load_dwordx2 s[6:7], s[20:21], 0x0
	flat_load_dwordx2 v[4:5], v[0:1]
	s_waitcnt vmcnt(0) lgkmcnt(0)
	v_mul_f64 v[4:5], s[6:7], v[4:5]
	v_fma_f64 v[2:3], s[4:5], v[2:3], v[4:5]
	flat_store_dwordx2 v[0:1], v[2:3]
.LBB39_6:
	s_endpgm
	.section	.rodata,"a",@progbits
	.p2align	6, 0x0
	.amdhsa_kernel _ZN9rocsolver6v33100L11gemm_kernelIdlPKdPKPdS6_S6_EEvT0_S7_S7_T1_bT2_lS7_S7_lbT3_lS7_S7_lS8_T4_lS7_S7_l
		.amdhsa_group_segment_fixed_size 0
		.amdhsa_private_segment_fixed_size 0
		.amdhsa_kernarg_size 432
		.amdhsa_user_sgpr_count 6
		.amdhsa_user_sgpr_private_segment_buffer 1
		.amdhsa_user_sgpr_dispatch_ptr 0
		.amdhsa_user_sgpr_queue_ptr 0
		.amdhsa_user_sgpr_kernarg_segment_ptr 1
		.amdhsa_user_sgpr_dispatch_id 0
		.amdhsa_user_sgpr_flat_scratch_init 0
		.amdhsa_user_sgpr_private_segment_size 0
		.amdhsa_uses_dynamic_stack 0
		.amdhsa_system_sgpr_private_segment_wavefront_offset 0
		.amdhsa_system_sgpr_workgroup_id_x 1
		.amdhsa_system_sgpr_workgroup_id_y 1
		.amdhsa_system_sgpr_workgroup_id_z 1
		.amdhsa_system_sgpr_workgroup_info 0
		.amdhsa_system_vgpr_workitem_id 1
		.amdhsa_next_free_vgpr 16
		.amdhsa_next_free_sgpr 44
		.amdhsa_reserve_vcc 1
		.amdhsa_reserve_flat_scratch 0
		.amdhsa_float_round_mode_32 0
		.amdhsa_float_round_mode_16_64 0
		.amdhsa_float_denorm_mode_32 3
		.amdhsa_float_denorm_mode_16_64 3
		.amdhsa_dx10_clamp 1
		.amdhsa_ieee_mode 1
		.amdhsa_fp16_overflow 0
		.amdhsa_exception_fp_ieee_invalid_op 0
		.amdhsa_exception_fp_denorm_src 0
		.amdhsa_exception_fp_ieee_div_zero 0
		.amdhsa_exception_fp_ieee_overflow 0
		.amdhsa_exception_fp_ieee_underflow 0
		.amdhsa_exception_fp_ieee_inexact 0
		.amdhsa_exception_int_div_zero 0
	.end_amdhsa_kernel
	.section	.text._ZN9rocsolver6v33100L11gemm_kernelIdlPKdPKPdS6_S6_EEvT0_S7_S7_T1_bT2_lS7_S7_lbT3_lS7_S7_lS8_T4_lS7_S7_l,"axG",@progbits,_ZN9rocsolver6v33100L11gemm_kernelIdlPKdPKPdS6_S6_EEvT0_S7_S7_T1_bT2_lS7_S7_lbT3_lS7_S7_lS8_T4_lS7_S7_l,comdat
.Lfunc_end39:
	.size	_ZN9rocsolver6v33100L11gemm_kernelIdlPKdPKPdS6_S6_EEvT0_S7_S7_T1_bT2_lS7_S7_lbT3_lS7_S7_lS8_T4_lS7_S7_l, .Lfunc_end39-_ZN9rocsolver6v33100L11gemm_kernelIdlPKdPKPdS6_S6_EEvT0_S7_S7_T1_bT2_lS7_S7_lbT3_lS7_S7_lS8_T4_lS7_S7_l
                                        ; -- End function
	.set _ZN9rocsolver6v33100L11gemm_kernelIdlPKdPKPdS6_S6_EEvT0_S7_S7_T1_bT2_lS7_S7_lbT3_lS7_S7_lS8_T4_lS7_S7_l.num_vgpr, 16
	.set _ZN9rocsolver6v33100L11gemm_kernelIdlPKdPKPdS6_S6_EEvT0_S7_S7_T1_bT2_lS7_S7_lbT3_lS7_S7_lS8_T4_lS7_S7_l.num_agpr, 0
	.set _ZN9rocsolver6v33100L11gemm_kernelIdlPKdPKPdS6_S6_EEvT0_S7_S7_T1_bT2_lS7_S7_lbT3_lS7_S7_lS8_T4_lS7_S7_l.numbered_sgpr, 44
	.set _ZN9rocsolver6v33100L11gemm_kernelIdlPKdPKPdS6_S6_EEvT0_S7_S7_T1_bT2_lS7_S7_lbT3_lS7_S7_lS8_T4_lS7_S7_l.num_named_barrier, 0
	.set _ZN9rocsolver6v33100L11gemm_kernelIdlPKdPKPdS6_S6_EEvT0_S7_S7_T1_bT2_lS7_S7_lbT3_lS7_S7_lS8_T4_lS7_S7_l.private_seg_size, 0
	.set _ZN9rocsolver6v33100L11gemm_kernelIdlPKdPKPdS6_S6_EEvT0_S7_S7_T1_bT2_lS7_S7_lbT3_lS7_S7_lS8_T4_lS7_S7_l.uses_vcc, 1
	.set _ZN9rocsolver6v33100L11gemm_kernelIdlPKdPKPdS6_S6_EEvT0_S7_S7_T1_bT2_lS7_S7_lbT3_lS7_S7_lS8_T4_lS7_S7_l.uses_flat_scratch, 0
	.set _ZN9rocsolver6v33100L11gemm_kernelIdlPKdPKPdS6_S6_EEvT0_S7_S7_T1_bT2_lS7_S7_lbT3_lS7_S7_lS8_T4_lS7_S7_l.has_dyn_sized_stack, 0
	.set _ZN9rocsolver6v33100L11gemm_kernelIdlPKdPKPdS6_S6_EEvT0_S7_S7_T1_bT2_lS7_S7_lbT3_lS7_S7_lS8_T4_lS7_S7_l.has_recursion, 0
	.set _ZN9rocsolver6v33100L11gemm_kernelIdlPKdPKPdS6_S6_EEvT0_S7_S7_T1_bT2_lS7_S7_lbT3_lS7_S7_lS8_T4_lS7_S7_l.has_indirect_call, 0
	.section	.AMDGPU.csdata,"",@progbits
; Kernel info:
; codeLenInByte = 604
; TotalNumSgprs: 48
; NumVgprs: 16
; ScratchSize: 0
; MemoryBound: 0
; FloatMode: 240
; IeeeMode: 1
; LDSByteSize: 0 bytes/workgroup (compile time only)
; SGPRBlocks: 5
; VGPRBlocks: 3
; NumSGPRsForWavesPerEU: 48
; NumVGPRsForWavesPerEU: 16
; Occupancy: 10
; WaveLimiterHint : 1
; COMPUTE_PGM_RSRC2:SCRATCH_EN: 0
; COMPUTE_PGM_RSRC2:USER_SGPR: 6
; COMPUTE_PGM_RSRC2:TRAP_HANDLER: 0
; COMPUTE_PGM_RSRC2:TGID_X_EN: 1
; COMPUTE_PGM_RSRC2:TGID_Y_EN: 1
; COMPUTE_PGM_RSRC2:TGID_Z_EN: 1
; COMPUTE_PGM_RSRC2:TIDIG_COMP_CNT: 1
	.section	.text._ZN9rocsolver6v33100L11gemm_kernelIdldPKPdS4_S4_EEvT0_S5_S5_T1_bT2_lS5_S5_lbT3_lS5_S5_lS6_T4_lS5_S5_l,"axG",@progbits,_ZN9rocsolver6v33100L11gemm_kernelIdldPKPdS4_S4_EEvT0_S5_S5_T1_bT2_lS5_S5_lbT3_lS5_S5_lS6_T4_lS5_S5_l,comdat
	.globl	_ZN9rocsolver6v33100L11gemm_kernelIdldPKPdS4_S4_EEvT0_S5_S5_T1_bT2_lS5_S5_lbT3_lS5_S5_lS6_T4_lS5_S5_l ; -- Begin function _ZN9rocsolver6v33100L11gemm_kernelIdldPKPdS4_S4_EEvT0_S5_S5_T1_bT2_lS5_S5_lbT3_lS5_S5_lS6_T4_lS5_S5_l
	.p2align	8
	.type	_ZN9rocsolver6v33100L11gemm_kernelIdldPKPdS4_S4_EEvT0_S5_S5_T1_bT2_lS5_S5_lbT3_lS5_S5_lS6_T4_lS5_S5_l,@function
_ZN9rocsolver6v33100L11gemm_kernelIdldPKPdS4_S4_EEvT0_S5_S5_T1_bT2_lS5_S5_lbT3_lS5_S5_lS6_T4_lS5_S5_l: ; @_ZN9rocsolver6v33100L11gemm_kernelIdldPKPdS4_S4_EEvT0_S5_S5_T1_bT2_lS5_S5_lbT3_lS5_S5_lS6_T4_lS5_S5_l
; %bb.0:
	s_load_dword s0, s[4:5], 0xbc
	s_load_dwordx8 s[12:19], s[4:5], 0x0
	v_mov_b32_e32 v2, v0
	v_mov_b32_e32 v3, 0
	;; [unrolled: 1-line block ×3, first 2 shown]
	s_waitcnt lgkmcnt(0)
	s_lshr_b32 s2, s0, 16
	s_and_b32 s0, s0, 0xffff
	v_mad_u64_u32 v[4:5], s[0:1], s0, v0, v[2:3]
	v_mov_b32_e32 v2, v3
	v_mov_b32_e32 v0, s7
	v_mad_u64_u32 v[0:1], s[0:1], s2, v0, v[1:2]
	v_cmp_gt_i64_e32 vcc, s[12:13], v[4:5]
	v_cmp_gt_i64_e64 s[0:1], s[14:15], v[0:1]
	s_and_b64 s[0:1], vcc, s[0:1]
	s_and_saveexec_b64 s[2:3], s[0:1]
	s_cbranch_execz .LBB40_6
; %bb.1:
	s_load_dwordx8 s[20:27], s[4:5], 0x80
	s_load_dwordx2 s[0:1], s[4:5], 0xa0
	s_mov_b32 s9, 0
	s_lshl_b64 s[6:7], s[8:9], 3
	v_cmp_lt_i64_e64 s[8:9], s[16:17], 1
	s_waitcnt lgkmcnt(0)
	s_add_u32 s2, s22, s6
	s_addc_u32 s3, s23, s7
	s_load_dwordx2 s[2:3], s[2:3], 0x0
	s_and_b64 vcc, exec, s[8:9]
	s_cbranch_vccnz .LBB40_4
; %bb.2:
	s_load_dwordx8 s[8:15], s[4:5], 0x28
	s_load_dwordx8 s[36:43], s[4:5], 0x58
	s_waitcnt lgkmcnt(0)
	s_add_u32 s4, s8, s6
	s_addc_u32 s5, s9, s7
	s_load_dwordx2 s[4:5], s[4:5], 0x0
	s_add_u32 s6, s36, s6
	s_addc_u32 s7, s37, s7
	s_load_dwordx2 s[6:7], s[6:7], 0x0
	s_lshl_b64 s[8:9], s[10:11], 3
	s_waitcnt lgkmcnt(0)
	s_add_u32 s8, s4, s8
	v_mul_lo_u32 v6, v5, s12
	v_mul_lo_u32 v7, v4, s13
	s_addc_u32 s9, s5, s9
	v_mad_u64_u32 v[2:3], s[4:5], v4, s12, 0
	s_lshl_b64 s[4:5], s[38:39], 3
	s_add_u32 s6, s6, s4
	s_addc_u32 s7, s7, s5
	v_mul_lo_u32 v10, v1, s42
	v_mul_lo_u32 v11, v0, s43
	v_mad_u64_u32 v[8:9], s[4:5], v0, s42, 0
	v_add3_u32 v3, v3, v7, v6
	v_lshlrev_b64 v[2:3], 3, v[2:3]
	v_mov_b32_e32 v7, s9
	v_add_co_u32_e32 v6, vcc, s8, v2
	v_add3_u32 v9, v9, v11, v10
	v_addc_co_u32_e32 v7, vcc, v7, v3, vcc
	v_lshlrev_b64 v[2:3], 3, v[8:9]
	v_mov_b32_e32 v9, s7
	v_add_co_u32_e32 v8, vcc, s6, v2
	v_addc_co_u32_e32 v9, vcc, v9, v3, vcc
	s_lshl_b64 s[4:5], s[40:41], 3
	s_lshl_b64 s[6:7], s[14:15], 3
	v_mov_b32_e32 v2, 0
	v_mov_b32_e32 v3, 0
	;; [unrolled: 1-line block ×4, first 2 shown]
.LBB40_3:                               ; =>This Inner Loop Header: Depth=1
	flat_load_dwordx2 v[12:13], v[6:7]
	flat_load_dwordx2 v[14:15], v[8:9]
	v_add_co_u32_e32 v8, vcc, s4, v8
	v_addc_co_u32_e32 v9, vcc, v9, v10, vcc
	s_add_u32 s16, s16, -1
	v_add_co_u32_e32 v6, vcc, s6, v6
	s_addc_u32 s17, s17, -1
	s_cmp_eq_u64 s[16:17], 0
	v_addc_co_u32_e32 v7, vcc, v7, v11, vcc
	s_waitcnt vmcnt(0) lgkmcnt(0)
	v_fma_f64 v[2:3], v[12:13], v[14:15], v[2:3]
	s_cbranch_scc0 .LBB40_3
	s_branch .LBB40_5
.LBB40_4:
	v_mov_b32_e32 v2, 0
	v_mov_b32_e32 v3, 0
.LBB40_5:
	v_mul_lo_u32 v6, v5, s26
	v_mul_lo_u32 v7, v4, s27
	v_mad_u64_u32 v[4:5], s[6:7], v4, s26, 0
	v_mul_lo_u32 v8, v1, s0
	v_mul_lo_u32 v9, v0, s1
	v_mad_u64_u32 v[0:1], s[0:1], v0, s0, 0
	s_lshl_b64 s[4:5], s[24:25], 3
	v_add3_u32 v5, v5, v7, v6
	s_waitcnt lgkmcnt(0)
	s_add_u32 s0, s2, s4
	v_lshlrev_b64 v[4:5], 3, v[4:5]
	s_addc_u32 s1, s3, s5
	v_add3_u32 v1, v1, v9, v8
	v_mov_b32_e32 v6, s1
	v_add_co_u32_e32 v4, vcc, s0, v4
	v_lshlrev_b64 v[0:1], 3, v[0:1]
	v_addc_co_u32_e32 v5, vcc, v6, v5, vcc
	v_add_co_u32_e32 v0, vcc, v4, v0
	v_addc_co_u32_e32 v1, vcc, v5, v1, vcc
	flat_load_dwordx2 v[4:5], v[0:1]
	s_waitcnt vmcnt(0) lgkmcnt(0)
	v_mul_f64 v[4:5], s[20:21], v[4:5]
	v_fma_f64 v[2:3], s[18:19], v[2:3], v[4:5]
	flat_store_dwordx2 v[0:1], v[2:3]
.LBB40_6:
	s_endpgm
	.section	.rodata,"a",@progbits
	.p2align	6, 0x0
	.amdhsa_kernel _ZN9rocsolver6v33100L11gemm_kernelIdldPKPdS4_S4_EEvT0_S5_S5_T1_bT2_lS5_S5_lbT3_lS5_S5_lS6_T4_lS5_S5_l
		.amdhsa_group_segment_fixed_size 0
		.amdhsa_private_segment_fixed_size 0
		.amdhsa_kernarg_size 432
		.amdhsa_user_sgpr_count 6
		.amdhsa_user_sgpr_private_segment_buffer 1
		.amdhsa_user_sgpr_dispatch_ptr 0
		.amdhsa_user_sgpr_queue_ptr 0
		.amdhsa_user_sgpr_kernarg_segment_ptr 1
		.amdhsa_user_sgpr_dispatch_id 0
		.amdhsa_user_sgpr_flat_scratch_init 0
		.amdhsa_user_sgpr_private_segment_size 0
		.amdhsa_uses_dynamic_stack 0
		.amdhsa_system_sgpr_private_segment_wavefront_offset 0
		.amdhsa_system_sgpr_workgroup_id_x 1
		.amdhsa_system_sgpr_workgroup_id_y 1
		.amdhsa_system_sgpr_workgroup_id_z 1
		.amdhsa_system_sgpr_workgroup_info 0
		.amdhsa_system_vgpr_workitem_id 1
		.amdhsa_next_free_vgpr 16
		.amdhsa_next_free_sgpr 44
		.amdhsa_reserve_vcc 1
		.amdhsa_reserve_flat_scratch 0
		.amdhsa_float_round_mode_32 0
		.amdhsa_float_round_mode_16_64 0
		.amdhsa_float_denorm_mode_32 3
		.amdhsa_float_denorm_mode_16_64 3
		.amdhsa_dx10_clamp 1
		.amdhsa_ieee_mode 1
		.amdhsa_fp16_overflow 0
		.amdhsa_exception_fp_ieee_invalid_op 0
		.amdhsa_exception_fp_denorm_src 0
		.amdhsa_exception_fp_ieee_div_zero 0
		.amdhsa_exception_fp_ieee_overflow 0
		.amdhsa_exception_fp_ieee_underflow 0
		.amdhsa_exception_fp_ieee_inexact 0
		.amdhsa_exception_int_div_zero 0
	.end_amdhsa_kernel
	.section	.text._ZN9rocsolver6v33100L11gemm_kernelIdldPKPdS4_S4_EEvT0_S5_S5_T1_bT2_lS5_S5_lbT3_lS5_S5_lS6_T4_lS5_S5_l,"axG",@progbits,_ZN9rocsolver6v33100L11gemm_kernelIdldPKPdS4_S4_EEvT0_S5_S5_T1_bT2_lS5_S5_lbT3_lS5_S5_lS6_T4_lS5_S5_l,comdat
.Lfunc_end40:
	.size	_ZN9rocsolver6v33100L11gemm_kernelIdldPKPdS4_S4_EEvT0_S5_S5_T1_bT2_lS5_S5_lbT3_lS5_S5_lS6_T4_lS5_S5_l, .Lfunc_end40-_ZN9rocsolver6v33100L11gemm_kernelIdldPKPdS4_S4_EEvT0_S5_S5_T1_bT2_lS5_S5_lbT3_lS5_S5_lS6_T4_lS5_S5_l
                                        ; -- End function
	.set _ZN9rocsolver6v33100L11gemm_kernelIdldPKPdS4_S4_EEvT0_S5_S5_T1_bT2_lS5_S5_lbT3_lS5_S5_lS6_T4_lS5_S5_l.num_vgpr, 16
	.set _ZN9rocsolver6v33100L11gemm_kernelIdldPKPdS4_S4_EEvT0_S5_S5_T1_bT2_lS5_S5_lbT3_lS5_S5_lS6_T4_lS5_S5_l.num_agpr, 0
	.set _ZN9rocsolver6v33100L11gemm_kernelIdldPKPdS4_S4_EEvT0_S5_S5_T1_bT2_lS5_S5_lbT3_lS5_S5_lS6_T4_lS5_S5_l.numbered_sgpr, 44
	.set _ZN9rocsolver6v33100L11gemm_kernelIdldPKPdS4_S4_EEvT0_S5_S5_T1_bT2_lS5_S5_lbT3_lS5_S5_lS6_T4_lS5_S5_l.num_named_barrier, 0
	.set _ZN9rocsolver6v33100L11gemm_kernelIdldPKPdS4_S4_EEvT0_S5_S5_T1_bT2_lS5_S5_lbT3_lS5_S5_lS6_T4_lS5_S5_l.private_seg_size, 0
	.set _ZN9rocsolver6v33100L11gemm_kernelIdldPKPdS4_S4_EEvT0_S5_S5_T1_bT2_lS5_S5_lbT3_lS5_S5_lS6_T4_lS5_S5_l.uses_vcc, 1
	.set _ZN9rocsolver6v33100L11gemm_kernelIdldPKPdS4_S4_EEvT0_S5_S5_T1_bT2_lS5_S5_lbT3_lS5_S5_lS6_T4_lS5_S5_l.uses_flat_scratch, 0
	.set _ZN9rocsolver6v33100L11gemm_kernelIdldPKPdS4_S4_EEvT0_S5_S5_T1_bT2_lS5_S5_lbT3_lS5_S5_lS6_T4_lS5_S5_l.has_dyn_sized_stack, 0
	.set _ZN9rocsolver6v33100L11gemm_kernelIdldPKPdS4_S4_EEvT0_S5_S5_T1_bT2_lS5_S5_lbT3_lS5_S5_lS6_T4_lS5_S5_l.has_recursion, 0
	.set _ZN9rocsolver6v33100L11gemm_kernelIdldPKPdS4_S4_EEvT0_S5_S5_T1_bT2_lS5_S5_lbT3_lS5_S5_lS6_T4_lS5_S5_l.has_indirect_call, 0
	.section	.AMDGPU.csdata,"",@progbits
; Kernel info:
; codeLenInByte = 588
; TotalNumSgprs: 48
; NumVgprs: 16
; ScratchSize: 0
; MemoryBound: 0
; FloatMode: 240
; IeeeMode: 1
; LDSByteSize: 0 bytes/workgroup (compile time only)
; SGPRBlocks: 5
; VGPRBlocks: 3
; NumSGPRsForWavesPerEU: 48
; NumVGPRsForWavesPerEU: 16
; Occupancy: 10
; WaveLimiterHint : 1
; COMPUTE_PGM_RSRC2:SCRATCH_EN: 0
; COMPUTE_PGM_RSRC2:USER_SGPR: 6
; COMPUTE_PGM_RSRC2:TRAP_HANDLER: 0
; COMPUTE_PGM_RSRC2:TGID_X_EN: 1
; COMPUTE_PGM_RSRC2:TGID_Y_EN: 1
; COMPUTE_PGM_RSRC2:TGID_Z_EN: 1
; COMPUTE_PGM_RSRC2:TIDIG_COMP_CNT: 1
	.section	.text._ZN9rocsolver6v33100L9get_arrayIdlEEvPPT_S3_lT0_,"axG",@progbits,_ZN9rocsolver6v33100L9get_arrayIdlEEvPPT_S3_lT0_,comdat
	.globl	_ZN9rocsolver6v33100L9get_arrayIdlEEvPPT_S3_lT0_ ; -- Begin function _ZN9rocsolver6v33100L9get_arrayIdlEEvPPT_S3_lT0_
	.p2align	8
	.type	_ZN9rocsolver6v33100L9get_arrayIdlEEvPPT_S3_lT0_,@function
_ZN9rocsolver6v33100L9get_arrayIdlEEvPPT_S3_lT0_: ; @_ZN9rocsolver6v33100L9get_arrayIdlEEvPPT_S3_lT0_
; %bb.0:
	s_load_dword s0, s[4:5], 0x2c
	v_mov_b32_e32 v1, 0
	s_load_dwordx8 s[8:15], s[4:5], 0x0
	v_mov_b32_e32 v2, s6
	s_waitcnt lgkmcnt(0)
	s_and_b32 s0, s0, 0xffff
	v_mad_u64_u32 v[0:1], s[0:1], s0, v2, v[0:1]
	v_cmp_gt_i64_e32 vcc, s[14:15], v[0:1]
	s_and_saveexec_b64 s[0:1], vcc
	s_cbranch_execz .LBB41_2
; %bb.1:
	v_mul_lo_u32 v4, v1, s12
	v_mul_lo_u32 v5, v0, s13
	v_mad_u64_u32 v[2:3], s[0:1], v0, s12, 0
	v_lshlrev_b64 v[0:1], 3, v[0:1]
	v_add3_u32 v3, v3, v5, v4
	v_lshlrev_b64 v[2:3], 3, v[2:3]
	v_mov_b32_e32 v4, s11
	v_add_co_u32_e32 v2, vcc, s10, v2
	v_addc_co_u32_e32 v3, vcc, v4, v3, vcc
	v_mov_b32_e32 v4, s9
	v_add_co_u32_e32 v0, vcc, s8, v0
	v_addc_co_u32_e32 v1, vcc, v4, v1, vcc
	global_store_dwordx2 v[0:1], v[2:3], off
.LBB41_2:
	s_endpgm
	.section	.rodata,"a",@progbits
	.p2align	6, 0x0
	.amdhsa_kernel _ZN9rocsolver6v33100L9get_arrayIdlEEvPPT_S3_lT0_
		.amdhsa_group_segment_fixed_size 0
		.amdhsa_private_segment_fixed_size 0
		.amdhsa_kernarg_size 288
		.amdhsa_user_sgpr_count 6
		.amdhsa_user_sgpr_private_segment_buffer 1
		.amdhsa_user_sgpr_dispatch_ptr 0
		.amdhsa_user_sgpr_queue_ptr 0
		.amdhsa_user_sgpr_kernarg_segment_ptr 1
		.amdhsa_user_sgpr_dispatch_id 0
		.amdhsa_user_sgpr_flat_scratch_init 0
		.amdhsa_user_sgpr_private_segment_size 0
		.amdhsa_uses_dynamic_stack 0
		.amdhsa_system_sgpr_private_segment_wavefront_offset 0
		.amdhsa_system_sgpr_workgroup_id_x 1
		.amdhsa_system_sgpr_workgroup_id_y 0
		.amdhsa_system_sgpr_workgroup_id_z 0
		.amdhsa_system_sgpr_workgroup_info 0
		.amdhsa_system_vgpr_workitem_id 0
		.amdhsa_next_free_vgpr 6
		.amdhsa_next_free_sgpr 16
		.amdhsa_reserve_vcc 1
		.amdhsa_reserve_flat_scratch 0
		.amdhsa_float_round_mode_32 0
		.amdhsa_float_round_mode_16_64 0
		.amdhsa_float_denorm_mode_32 3
		.amdhsa_float_denorm_mode_16_64 3
		.amdhsa_dx10_clamp 1
		.amdhsa_ieee_mode 1
		.amdhsa_fp16_overflow 0
		.amdhsa_exception_fp_ieee_invalid_op 0
		.amdhsa_exception_fp_denorm_src 0
		.amdhsa_exception_fp_ieee_div_zero 0
		.amdhsa_exception_fp_ieee_overflow 0
		.amdhsa_exception_fp_ieee_underflow 0
		.amdhsa_exception_fp_ieee_inexact 0
		.amdhsa_exception_int_div_zero 0
	.end_amdhsa_kernel
	.section	.text._ZN9rocsolver6v33100L9get_arrayIdlEEvPPT_S3_lT0_,"axG",@progbits,_ZN9rocsolver6v33100L9get_arrayIdlEEvPPT_S3_lT0_,comdat
.Lfunc_end41:
	.size	_ZN9rocsolver6v33100L9get_arrayIdlEEvPPT_S3_lT0_, .Lfunc_end41-_ZN9rocsolver6v33100L9get_arrayIdlEEvPPT_S3_lT0_
                                        ; -- End function
	.set _ZN9rocsolver6v33100L9get_arrayIdlEEvPPT_S3_lT0_.num_vgpr, 6
	.set _ZN9rocsolver6v33100L9get_arrayIdlEEvPPT_S3_lT0_.num_agpr, 0
	.set _ZN9rocsolver6v33100L9get_arrayIdlEEvPPT_S3_lT0_.numbered_sgpr, 16
	.set _ZN9rocsolver6v33100L9get_arrayIdlEEvPPT_S3_lT0_.num_named_barrier, 0
	.set _ZN9rocsolver6v33100L9get_arrayIdlEEvPPT_S3_lT0_.private_seg_size, 0
	.set _ZN9rocsolver6v33100L9get_arrayIdlEEvPPT_S3_lT0_.uses_vcc, 1
	.set _ZN9rocsolver6v33100L9get_arrayIdlEEvPPT_S3_lT0_.uses_flat_scratch, 0
	.set _ZN9rocsolver6v33100L9get_arrayIdlEEvPPT_S3_lT0_.has_dyn_sized_stack, 0
	.set _ZN9rocsolver6v33100L9get_arrayIdlEEvPPT_S3_lT0_.has_recursion, 0
	.set _ZN9rocsolver6v33100L9get_arrayIdlEEvPPT_S3_lT0_.has_indirect_call, 0
	.section	.AMDGPU.csdata,"",@progbits
; Kernel info:
; codeLenInByte = 140
; TotalNumSgprs: 20
; NumVgprs: 6
; ScratchSize: 0
; MemoryBound: 0
; FloatMode: 240
; IeeeMode: 1
; LDSByteSize: 0 bytes/workgroup (compile time only)
; SGPRBlocks: 2
; VGPRBlocks: 1
; NumSGPRsForWavesPerEU: 20
; NumVGPRsForWavesPerEU: 6
; Occupancy: 10
; WaveLimiterHint : 0
; COMPUTE_PGM_RSRC2:SCRATCH_EN: 0
; COMPUTE_PGM_RSRC2:USER_SGPR: 6
; COMPUTE_PGM_RSRC2:TRAP_HANDLER: 0
; COMPUTE_PGM_RSRC2:TGID_X_EN: 1
; COMPUTE_PGM_RSRC2:TGID_Y_EN: 0
; COMPUTE_PGM_RSRC2:TGID_Z_EN: 0
; COMPUTE_PGM_RSRC2:TIDIG_COMP_CNT: 0
	.section	.text._ZN9rocsolver6v33100L16mfma_gemm_kernelIdlPKdPdPKS4_S6_EEv18rocblas_operation_S7_T0_S8_S8_T1_T2_lS8_S8_lT3_lS8_S8_lS9_T4_lS8_S8_l,"axG",@progbits,_ZN9rocsolver6v33100L16mfma_gemm_kernelIdlPKdPdPKS4_S6_EEv18rocblas_operation_S7_T0_S8_S8_T1_T2_lS8_S8_lT3_lS8_S8_lS9_T4_lS8_S8_l,comdat
	.globl	_ZN9rocsolver6v33100L16mfma_gemm_kernelIdlPKdPdPKS4_S6_EEv18rocblas_operation_S7_T0_S8_S8_T1_T2_lS8_S8_lT3_lS8_S8_lS9_T4_lS8_S8_l ; -- Begin function _ZN9rocsolver6v33100L16mfma_gemm_kernelIdlPKdPdPKS4_S6_EEv18rocblas_operation_S7_T0_S8_S8_T1_T2_lS8_S8_lT3_lS8_S8_lS9_T4_lS8_S8_l
	.p2align	8
	.type	_ZN9rocsolver6v33100L16mfma_gemm_kernelIdlPKdPdPKS4_S6_EEv18rocblas_operation_S7_T0_S8_S8_T1_T2_lS8_S8_lT3_lS8_S8_lS9_T4_lS8_S8_l,@function
_ZN9rocsolver6v33100L16mfma_gemm_kernelIdlPKdPdPKS4_S6_EEv18rocblas_operation_S7_T0_S8_S8_T1_T2_lS8_S8_lT3_lS8_S8_lS9_T4_lS8_S8_l: ; @_ZN9rocsolver6v33100L16mfma_gemm_kernelIdlPKdPdPKS4_S6_EEv18rocblas_operation_S7_T0_S8_S8_T1_T2_lS8_S8_lT3_lS8_S8_lS9_T4_lS8_S8_l
; %bb.0:
	s_endpgm
	.section	.rodata,"a",@progbits
	.p2align	6, 0x0
	.amdhsa_kernel _ZN9rocsolver6v33100L16mfma_gemm_kernelIdlPKdPdPKS4_S6_EEv18rocblas_operation_S7_T0_S8_S8_T1_T2_lS8_S8_lT3_lS8_S8_lS9_T4_lS8_S8_l
		.amdhsa_group_segment_fixed_size 0
		.amdhsa_private_segment_fixed_size 0
		.amdhsa_kernarg_size 168
		.amdhsa_user_sgpr_count 6
		.amdhsa_user_sgpr_private_segment_buffer 1
		.amdhsa_user_sgpr_dispatch_ptr 0
		.amdhsa_user_sgpr_queue_ptr 0
		.amdhsa_user_sgpr_kernarg_segment_ptr 1
		.amdhsa_user_sgpr_dispatch_id 0
		.amdhsa_user_sgpr_flat_scratch_init 0
		.amdhsa_user_sgpr_private_segment_size 0
		.amdhsa_uses_dynamic_stack 0
		.amdhsa_system_sgpr_private_segment_wavefront_offset 0
		.amdhsa_system_sgpr_workgroup_id_x 1
		.amdhsa_system_sgpr_workgroup_id_y 0
		.amdhsa_system_sgpr_workgroup_id_z 0
		.amdhsa_system_sgpr_workgroup_info 0
		.amdhsa_system_vgpr_workitem_id 0
		.amdhsa_next_free_vgpr 1
		.amdhsa_next_free_sgpr 0
		.amdhsa_reserve_vcc 0
		.amdhsa_reserve_flat_scratch 0
		.amdhsa_float_round_mode_32 0
		.amdhsa_float_round_mode_16_64 0
		.amdhsa_float_denorm_mode_32 3
		.amdhsa_float_denorm_mode_16_64 3
		.amdhsa_dx10_clamp 1
		.amdhsa_ieee_mode 1
		.amdhsa_fp16_overflow 0
		.amdhsa_exception_fp_ieee_invalid_op 0
		.amdhsa_exception_fp_denorm_src 0
		.amdhsa_exception_fp_ieee_div_zero 0
		.amdhsa_exception_fp_ieee_overflow 0
		.amdhsa_exception_fp_ieee_underflow 0
		.amdhsa_exception_fp_ieee_inexact 0
		.amdhsa_exception_int_div_zero 0
	.end_amdhsa_kernel
	.section	.text._ZN9rocsolver6v33100L16mfma_gemm_kernelIdlPKdPdPKS4_S6_EEv18rocblas_operation_S7_T0_S8_S8_T1_T2_lS8_S8_lT3_lS8_S8_lS9_T4_lS8_S8_l,"axG",@progbits,_ZN9rocsolver6v33100L16mfma_gemm_kernelIdlPKdPdPKS4_S6_EEv18rocblas_operation_S7_T0_S8_S8_T1_T2_lS8_S8_lT3_lS8_S8_lS9_T4_lS8_S8_l,comdat
.Lfunc_end42:
	.size	_ZN9rocsolver6v33100L16mfma_gemm_kernelIdlPKdPdPKS4_S6_EEv18rocblas_operation_S7_T0_S8_S8_T1_T2_lS8_S8_lT3_lS8_S8_lS9_T4_lS8_S8_l, .Lfunc_end42-_ZN9rocsolver6v33100L16mfma_gemm_kernelIdlPKdPdPKS4_S6_EEv18rocblas_operation_S7_T0_S8_S8_T1_T2_lS8_S8_lT3_lS8_S8_lS9_T4_lS8_S8_l
                                        ; -- End function
	.set _ZN9rocsolver6v33100L16mfma_gemm_kernelIdlPKdPdPKS4_S6_EEv18rocblas_operation_S7_T0_S8_S8_T1_T2_lS8_S8_lT3_lS8_S8_lS9_T4_lS8_S8_l.num_vgpr, 0
	.set _ZN9rocsolver6v33100L16mfma_gemm_kernelIdlPKdPdPKS4_S6_EEv18rocblas_operation_S7_T0_S8_S8_T1_T2_lS8_S8_lT3_lS8_S8_lS9_T4_lS8_S8_l.num_agpr, 0
	.set _ZN9rocsolver6v33100L16mfma_gemm_kernelIdlPKdPdPKS4_S6_EEv18rocblas_operation_S7_T0_S8_S8_T1_T2_lS8_S8_lT3_lS8_S8_lS9_T4_lS8_S8_l.numbered_sgpr, 0
	.set _ZN9rocsolver6v33100L16mfma_gemm_kernelIdlPKdPdPKS4_S6_EEv18rocblas_operation_S7_T0_S8_S8_T1_T2_lS8_S8_lT3_lS8_S8_lS9_T4_lS8_S8_l.num_named_barrier, 0
	.set _ZN9rocsolver6v33100L16mfma_gemm_kernelIdlPKdPdPKS4_S6_EEv18rocblas_operation_S7_T0_S8_S8_T1_T2_lS8_S8_lT3_lS8_S8_lS9_T4_lS8_S8_l.private_seg_size, 0
	.set _ZN9rocsolver6v33100L16mfma_gemm_kernelIdlPKdPdPKS4_S6_EEv18rocblas_operation_S7_T0_S8_S8_T1_T2_lS8_S8_lT3_lS8_S8_lS9_T4_lS8_S8_l.uses_vcc, 0
	.set _ZN9rocsolver6v33100L16mfma_gemm_kernelIdlPKdPdPKS4_S6_EEv18rocblas_operation_S7_T0_S8_S8_T1_T2_lS8_S8_lT3_lS8_S8_lS9_T4_lS8_S8_l.uses_flat_scratch, 0
	.set _ZN9rocsolver6v33100L16mfma_gemm_kernelIdlPKdPdPKS4_S6_EEv18rocblas_operation_S7_T0_S8_S8_T1_T2_lS8_S8_lT3_lS8_S8_lS9_T4_lS8_S8_l.has_dyn_sized_stack, 0
	.set _ZN9rocsolver6v33100L16mfma_gemm_kernelIdlPKdPdPKS4_S6_EEv18rocblas_operation_S7_T0_S8_S8_T1_T2_lS8_S8_lT3_lS8_S8_lS9_T4_lS8_S8_l.has_recursion, 0
	.set _ZN9rocsolver6v33100L16mfma_gemm_kernelIdlPKdPdPKS4_S6_EEv18rocblas_operation_S7_T0_S8_S8_T1_T2_lS8_S8_lT3_lS8_S8_lS9_T4_lS8_S8_l.has_indirect_call, 0
	.section	.AMDGPU.csdata,"",@progbits
; Kernel info:
; codeLenInByte = 4
; TotalNumSgprs: 4
; NumVgprs: 0
; ScratchSize: 0
; MemoryBound: 0
; FloatMode: 240
; IeeeMode: 1
; LDSByteSize: 0 bytes/workgroup (compile time only)
; SGPRBlocks: 0
; VGPRBlocks: 0
; NumSGPRsForWavesPerEU: 4
; NumVGPRsForWavesPerEU: 1
; Occupancy: 10
; WaveLimiterHint : 0
; COMPUTE_PGM_RSRC2:SCRATCH_EN: 0
; COMPUTE_PGM_RSRC2:USER_SGPR: 6
; COMPUTE_PGM_RSRC2:TRAP_HANDLER: 0
; COMPUTE_PGM_RSRC2:TGID_X_EN: 1
; COMPUTE_PGM_RSRC2:TGID_Y_EN: 0
; COMPUTE_PGM_RSRC2:TGID_Z_EN: 0
; COMPUTE_PGM_RSRC2:TIDIG_COMP_CNT: 0
	.section	.text._ZN9rocsolver6v33100L16mfma_gemm_kernelIdldPdPKS2_S4_EEv18rocblas_operation_S5_T0_S6_S6_T1_T2_lS6_S6_lT3_lS6_S6_lS7_T4_lS6_S6_l,"axG",@progbits,_ZN9rocsolver6v33100L16mfma_gemm_kernelIdldPdPKS2_S4_EEv18rocblas_operation_S5_T0_S6_S6_T1_T2_lS6_S6_lT3_lS6_S6_lS7_T4_lS6_S6_l,comdat
	.globl	_ZN9rocsolver6v33100L16mfma_gemm_kernelIdldPdPKS2_S4_EEv18rocblas_operation_S5_T0_S6_S6_T1_T2_lS6_S6_lT3_lS6_S6_lS7_T4_lS6_S6_l ; -- Begin function _ZN9rocsolver6v33100L16mfma_gemm_kernelIdldPdPKS2_S4_EEv18rocblas_operation_S5_T0_S6_S6_T1_T2_lS6_S6_lT3_lS6_S6_lS7_T4_lS6_S6_l
	.p2align	8
	.type	_ZN9rocsolver6v33100L16mfma_gemm_kernelIdldPdPKS2_S4_EEv18rocblas_operation_S5_T0_S6_S6_T1_T2_lS6_S6_lT3_lS6_S6_lS7_T4_lS6_S6_l,@function
_ZN9rocsolver6v33100L16mfma_gemm_kernelIdldPdPKS2_S4_EEv18rocblas_operation_S5_T0_S6_S6_T1_T2_lS6_S6_lT3_lS6_S6_lS7_T4_lS6_S6_l: ; @_ZN9rocsolver6v33100L16mfma_gemm_kernelIdldPdPKS2_S4_EEv18rocblas_operation_S5_T0_S6_S6_T1_T2_lS6_S6_lT3_lS6_S6_lS7_T4_lS6_S6_l
; %bb.0:
	s_endpgm
	.section	.rodata,"a",@progbits
	.p2align	6, 0x0
	.amdhsa_kernel _ZN9rocsolver6v33100L16mfma_gemm_kernelIdldPdPKS2_S4_EEv18rocblas_operation_S5_T0_S6_S6_T1_T2_lS6_S6_lT3_lS6_S6_lS7_T4_lS6_S6_l
		.amdhsa_group_segment_fixed_size 0
		.amdhsa_private_segment_fixed_size 0
		.amdhsa_kernarg_size 168
		.amdhsa_user_sgpr_count 6
		.amdhsa_user_sgpr_private_segment_buffer 1
		.amdhsa_user_sgpr_dispatch_ptr 0
		.amdhsa_user_sgpr_queue_ptr 0
		.amdhsa_user_sgpr_kernarg_segment_ptr 1
		.amdhsa_user_sgpr_dispatch_id 0
		.amdhsa_user_sgpr_flat_scratch_init 0
		.amdhsa_user_sgpr_private_segment_size 0
		.amdhsa_uses_dynamic_stack 0
		.amdhsa_system_sgpr_private_segment_wavefront_offset 0
		.amdhsa_system_sgpr_workgroup_id_x 1
		.amdhsa_system_sgpr_workgroup_id_y 0
		.amdhsa_system_sgpr_workgroup_id_z 0
		.amdhsa_system_sgpr_workgroup_info 0
		.amdhsa_system_vgpr_workitem_id 0
		.amdhsa_next_free_vgpr 1
		.amdhsa_next_free_sgpr 0
		.amdhsa_reserve_vcc 0
		.amdhsa_reserve_flat_scratch 0
		.amdhsa_float_round_mode_32 0
		.amdhsa_float_round_mode_16_64 0
		.amdhsa_float_denorm_mode_32 3
		.amdhsa_float_denorm_mode_16_64 3
		.amdhsa_dx10_clamp 1
		.amdhsa_ieee_mode 1
		.amdhsa_fp16_overflow 0
		.amdhsa_exception_fp_ieee_invalid_op 0
		.amdhsa_exception_fp_denorm_src 0
		.amdhsa_exception_fp_ieee_div_zero 0
		.amdhsa_exception_fp_ieee_overflow 0
		.amdhsa_exception_fp_ieee_underflow 0
		.amdhsa_exception_fp_ieee_inexact 0
		.amdhsa_exception_int_div_zero 0
	.end_amdhsa_kernel
	.section	.text._ZN9rocsolver6v33100L16mfma_gemm_kernelIdldPdPKS2_S4_EEv18rocblas_operation_S5_T0_S6_S6_T1_T2_lS6_S6_lT3_lS6_S6_lS7_T4_lS6_S6_l,"axG",@progbits,_ZN9rocsolver6v33100L16mfma_gemm_kernelIdldPdPKS2_S4_EEv18rocblas_operation_S5_T0_S6_S6_T1_T2_lS6_S6_lT3_lS6_S6_lS7_T4_lS6_S6_l,comdat
.Lfunc_end43:
	.size	_ZN9rocsolver6v33100L16mfma_gemm_kernelIdldPdPKS2_S4_EEv18rocblas_operation_S5_T0_S6_S6_T1_T2_lS6_S6_lT3_lS6_S6_lS7_T4_lS6_S6_l, .Lfunc_end43-_ZN9rocsolver6v33100L16mfma_gemm_kernelIdldPdPKS2_S4_EEv18rocblas_operation_S5_T0_S6_S6_T1_T2_lS6_S6_lT3_lS6_S6_lS7_T4_lS6_S6_l
                                        ; -- End function
	.set _ZN9rocsolver6v33100L16mfma_gemm_kernelIdldPdPKS2_S4_EEv18rocblas_operation_S5_T0_S6_S6_T1_T2_lS6_S6_lT3_lS6_S6_lS7_T4_lS6_S6_l.num_vgpr, 0
	.set _ZN9rocsolver6v33100L16mfma_gemm_kernelIdldPdPKS2_S4_EEv18rocblas_operation_S5_T0_S6_S6_T1_T2_lS6_S6_lT3_lS6_S6_lS7_T4_lS6_S6_l.num_agpr, 0
	.set _ZN9rocsolver6v33100L16mfma_gemm_kernelIdldPdPKS2_S4_EEv18rocblas_operation_S5_T0_S6_S6_T1_T2_lS6_S6_lT3_lS6_S6_lS7_T4_lS6_S6_l.numbered_sgpr, 0
	.set _ZN9rocsolver6v33100L16mfma_gemm_kernelIdldPdPKS2_S4_EEv18rocblas_operation_S5_T0_S6_S6_T1_T2_lS6_S6_lT3_lS6_S6_lS7_T4_lS6_S6_l.num_named_barrier, 0
	.set _ZN9rocsolver6v33100L16mfma_gemm_kernelIdldPdPKS2_S4_EEv18rocblas_operation_S5_T0_S6_S6_T1_T2_lS6_S6_lT3_lS6_S6_lS7_T4_lS6_S6_l.private_seg_size, 0
	.set _ZN9rocsolver6v33100L16mfma_gemm_kernelIdldPdPKS2_S4_EEv18rocblas_operation_S5_T0_S6_S6_T1_T2_lS6_S6_lT3_lS6_S6_lS7_T4_lS6_S6_l.uses_vcc, 0
	.set _ZN9rocsolver6v33100L16mfma_gemm_kernelIdldPdPKS2_S4_EEv18rocblas_operation_S5_T0_S6_S6_T1_T2_lS6_S6_lT3_lS6_S6_lS7_T4_lS6_S6_l.uses_flat_scratch, 0
	.set _ZN9rocsolver6v33100L16mfma_gemm_kernelIdldPdPKS2_S4_EEv18rocblas_operation_S5_T0_S6_S6_T1_T2_lS6_S6_lT3_lS6_S6_lS7_T4_lS6_S6_l.has_dyn_sized_stack, 0
	.set _ZN9rocsolver6v33100L16mfma_gemm_kernelIdldPdPKS2_S4_EEv18rocblas_operation_S5_T0_S6_S6_T1_T2_lS6_S6_lT3_lS6_S6_lS7_T4_lS6_S6_l.has_recursion, 0
	.set _ZN9rocsolver6v33100L16mfma_gemm_kernelIdldPdPKS2_S4_EEv18rocblas_operation_S5_T0_S6_S6_T1_T2_lS6_S6_lT3_lS6_S6_lS7_T4_lS6_S6_l.has_indirect_call, 0
	.section	.AMDGPU.csdata,"",@progbits
; Kernel info:
; codeLenInByte = 4
; TotalNumSgprs: 4
; NumVgprs: 0
; ScratchSize: 0
; MemoryBound: 0
; FloatMode: 240
; IeeeMode: 1
; LDSByteSize: 0 bytes/workgroup (compile time only)
; SGPRBlocks: 0
; VGPRBlocks: 0
; NumSGPRsForWavesPerEU: 4
; NumVGPRsForWavesPerEU: 1
; Occupancy: 10
; WaveLimiterHint : 0
; COMPUTE_PGM_RSRC2:SCRATCH_EN: 0
; COMPUTE_PGM_RSRC2:USER_SGPR: 6
; COMPUTE_PGM_RSRC2:TRAP_HANDLER: 0
; COMPUTE_PGM_RSRC2:TGID_X_EN: 1
; COMPUTE_PGM_RSRC2:TGID_Y_EN: 0
; COMPUTE_PGM_RSRC2:TGID_Z_EN: 0
; COMPUTE_PGM_RSRC2:TIDIG_COMP_CNT: 0
	.section	.text._ZN9rocsolver6v33100L11gemm_kernelIdlPKdPdPKS4_S6_EEvT0_S7_S7_T1_bT2_lS7_S7_lbT3_lS7_S7_lS8_T4_lS7_S7_l,"axG",@progbits,_ZN9rocsolver6v33100L11gemm_kernelIdlPKdPdPKS4_S6_EEvT0_S7_S7_T1_bT2_lS7_S7_lbT3_lS7_S7_lS8_T4_lS7_S7_l,comdat
	.globl	_ZN9rocsolver6v33100L11gemm_kernelIdlPKdPdPKS4_S6_EEvT0_S7_S7_T1_bT2_lS7_S7_lbT3_lS7_S7_lS8_T4_lS7_S7_l ; -- Begin function _ZN9rocsolver6v33100L11gemm_kernelIdlPKdPdPKS4_S6_EEvT0_S7_S7_T1_bT2_lS7_S7_lbT3_lS7_S7_lS8_T4_lS7_S7_l
	.p2align	8
	.type	_ZN9rocsolver6v33100L11gemm_kernelIdlPKdPdPKS4_S6_EEvT0_S7_S7_T1_bT2_lS7_S7_lbT3_lS7_S7_lS8_T4_lS7_S7_l,@function
_ZN9rocsolver6v33100L11gemm_kernelIdlPKdPdPKS4_S6_EEvT0_S7_S7_T1_bT2_lS7_S7_lbT3_lS7_S7_lS8_T4_lS7_S7_l: ; @_ZN9rocsolver6v33100L11gemm_kernelIdlPKdPdPKS4_S6_EEvT0_S7_S7_T1_bT2_lS7_S7_lbT3_lS7_S7_lS8_T4_lS7_S7_l
; %bb.0:
	s_load_dword s0, s[4:5], 0xbc
	s_load_dwordx8 s[12:19], s[4:5], 0x0
	v_mov_b32_e32 v2, v0
	v_mov_b32_e32 v3, 0
	;; [unrolled: 1-line block ×3, first 2 shown]
	s_waitcnt lgkmcnt(0)
	s_lshr_b32 s2, s0, 16
	s_and_b32 s0, s0, 0xffff
	v_mad_u64_u32 v[4:5], s[0:1], s0, v0, v[2:3]
	v_mov_b32_e32 v2, v3
	v_mov_b32_e32 v0, s7
	v_mad_u64_u32 v[0:1], s[0:1], s2, v0, v[1:2]
	v_cmp_gt_i64_e32 vcc, s[12:13], v[4:5]
	v_cmp_gt_i64_e64 s[0:1], s[14:15], v[0:1]
	s_and_b64 s[0:1], vcc, s[0:1]
	s_and_saveexec_b64 s[2:3], s[0:1]
	s_cbranch_execz .LBB44_6
; %bb.1:
	s_load_dwordx8 s[20:27], s[4:5], 0x80
	s_load_dwordx2 s[0:1], s[4:5], 0xa0
	s_mov_b32 s9, 0
	s_lshl_b64 s[6:7], s[8:9], 3
	v_cmp_lt_i64_e64 s[10:11], s[16:17], 1
	s_waitcnt lgkmcnt(0)
	s_add_u32 s2, s22, s6
	s_addc_u32 s3, s23, s7
	s_load_dwordx2 s[2:3], s[2:3], 0x0
	s_and_b64 vcc, exec, s[10:11]
	s_cbranch_vccnz .LBB44_4
; %bb.2:
	s_load_dwordx8 s[36:43], s[4:5], 0x58
	s_load_dwordx2 s[10:11], s[4:5], 0x48
	s_load_dwordx8 s[44:51], s[4:5], 0x28
	s_waitcnt lgkmcnt(0)
	s_add_u32 s4, s36, s6
	s_mul_i32 s6, s11, s8
	s_mul_hi_u32 s9, s10, s8
	s_addc_u32 s5, s37, s7
	s_add_i32 s7, s9, s6
	s_mul_i32 s6, s10, s8
	s_lshl_b64 s[6:7], s[6:7], 3
	s_load_dwordx2 s[4:5], s[4:5], 0x0
	s_add_u32 s8, s44, s6
	s_addc_u32 s9, s45, s7
	s_lshl_b64 s[6:7], s[46:47], 3
	s_add_u32 s8, s8, s6
	s_addc_u32 s9, s9, s7
	v_mul_lo_u32 v6, v5, s48
	v_mul_lo_u32 v7, v4, s49
	v_mad_u64_u32 v[2:3], s[6:7], v4, s48, 0
	s_lshl_b64 s[6:7], s[38:39], 3
	s_waitcnt lgkmcnt(0)
	s_add_u32 s6, s4, s6
	s_addc_u32 s7, s5, s7
	v_mul_lo_u32 v10, v1, s42
	v_mul_lo_u32 v11, v0, s43
	v_mad_u64_u32 v[8:9], s[4:5], v0, s42, 0
	v_add3_u32 v3, v3, v7, v6
	v_lshlrev_b64 v[2:3], 3, v[2:3]
	v_mov_b32_e32 v7, s9
	v_add_co_u32_e32 v6, vcc, s8, v2
	v_add3_u32 v9, v9, v11, v10
	v_addc_co_u32_e32 v7, vcc, v7, v3, vcc
	v_lshlrev_b64 v[2:3], 3, v[8:9]
	v_mov_b32_e32 v9, s7
	v_add_co_u32_e32 v8, vcc, s6, v2
	v_addc_co_u32_e32 v9, vcc, v9, v3, vcc
	s_lshl_b64 s[4:5], s[40:41], 3
	s_lshl_b64 s[6:7], s[50:51], 3
	v_mov_b32_e32 v2, 0
	v_mov_b32_e32 v3, 0
	;; [unrolled: 1-line block ×4, first 2 shown]
.LBB44_3:                               ; =>This Inner Loop Header: Depth=1
	global_load_dwordx2 v[12:13], v[6:7], off
	flat_load_dwordx2 v[14:15], v[8:9]
	v_add_co_u32_e32 v8, vcc, s4, v8
	v_addc_co_u32_e32 v9, vcc, v9, v10, vcc
	s_add_u32 s16, s16, -1
	v_add_co_u32_e32 v6, vcc, s6, v6
	s_addc_u32 s17, s17, -1
	s_cmp_eq_u64 s[16:17], 0
	v_addc_co_u32_e32 v7, vcc, v7, v11, vcc
	s_waitcnt vmcnt(0) lgkmcnt(0)
	v_fma_f64 v[2:3], v[12:13], v[14:15], v[2:3]
	s_cbranch_scc0 .LBB44_3
	s_branch .LBB44_5
.LBB44_4:
	v_mov_b32_e32 v2, 0
	v_mov_b32_e32 v3, 0
.LBB44_5:
	v_mul_lo_u32 v6, v5, s26
	v_mul_lo_u32 v7, v4, s27
	v_mad_u64_u32 v[4:5], s[10:11], v4, s26, 0
	v_mul_lo_u32 v8, v1, s0
	v_mul_lo_u32 v9, v0, s1
	v_mad_u64_u32 v[0:1], s[0:1], v0, s0, 0
	s_lshl_b64 s[8:9], s[24:25], 3
	v_add3_u32 v5, v5, v7, v6
	s_waitcnt lgkmcnt(0)
	s_add_u32 s0, s2, s8
	v_lshlrev_b64 v[4:5], 3, v[4:5]
	s_addc_u32 s1, s3, s9
	v_add3_u32 v1, v1, v9, v8
	v_mov_b32_e32 v6, s1
	v_add_co_u32_e32 v4, vcc, s0, v4
	v_lshlrev_b64 v[0:1], 3, v[0:1]
	v_addc_co_u32_e32 v5, vcc, v6, v5, vcc
	v_add_co_u32_e32 v0, vcc, v4, v0
	v_addc_co_u32_e32 v1, vcc, v5, v1, vcc
	s_load_dwordx2 s[4:5], s[18:19], 0x0
	s_load_dwordx2 s[6:7], s[20:21], 0x0
	flat_load_dwordx2 v[4:5], v[0:1]
	s_waitcnt vmcnt(0) lgkmcnt(0)
	v_mul_f64 v[4:5], s[6:7], v[4:5]
	v_fma_f64 v[2:3], s[4:5], v[2:3], v[4:5]
	flat_store_dwordx2 v[0:1], v[2:3]
.LBB44_6:
	s_endpgm
	.section	.rodata,"a",@progbits
	.p2align	6, 0x0
	.amdhsa_kernel _ZN9rocsolver6v33100L11gemm_kernelIdlPKdPdPKS4_S6_EEvT0_S7_S7_T1_bT2_lS7_S7_lbT3_lS7_S7_lS8_T4_lS7_S7_l
		.amdhsa_group_segment_fixed_size 0
		.amdhsa_private_segment_fixed_size 0
		.amdhsa_kernarg_size 432
		.amdhsa_user_sgpr_count 6
		.amdhsa_user_sgpr_private_segment_buffer 1
		.amdhsa_user_sgpr_dispatch_ptr 0
		.amdhsa_user_sgpr_queue_ptr 0
		.amdhsa_user_sgpr_kernarg_segment_ptr 1
		.amdhsa_user_sgpr_dispatch_id 0
		.amdhsa_user_sgpr_flat_scratch_init 0
		.amdhsa_user_sgpr_private_segment_size 0
		.amdhsa_uses_dynamic_stack 0
		.amdhsa_system_sgpr_private_segment_wavefront_offset 0
		.amdhsa_system_sgpr_workgroup_id_x 1
		.amdhsa_system_sgpr_workgroup_id_y 1
		.amdhsa_system_sgpr_workgroup_id_z 1
		.amdhsa_system_sgpr_workgroup_info 0
		.amdhsa_system_vgpr_workitem_id 1
		.amdhsa_next_free_vgpr 16
		.amdhsa_next_free_sgpr 52
		.amdhsa_reserve_vcc 1
		.amdhsa_reserve_flat_scratch 0
		.amdhsa_float_round_mode_32 0
		.amdhsa_float_round_mode_16_64 0
		.amdhsa_float_denorm_mode_32 3
		.amdhsa_float_denorm_mode_16_64 3
		.amdhsa_dx10_clamp 1
		.amdhsa_ieee_mode 1
		.amdhsa_fp16_overflow 0
		.amdhsa_exception_fp_ieee_invalid_op 0
		.amdhsa_exception_fp_denorm_src 0
		.amdhsa_exception_fp_ieee_div_zero 0
		.amdhsa_exception_fp_ieee_overflow 0
		.amdhsa_exception_fp_ieee_underflow 0
		.amdhsa_exception_fp_ieee_inexact 0
		.amdhsa_exception_int_div_zero 0
	.end_amdhsa_kernel
	.section	.text._ZN9rocsolver6v33100L11gemm_kernelIdlPKdPdPKS4_S6_EEvT0_S7_S7_T1_bT2_lS7_S7_lbT3_lS7_S7_lS8_T4_lS7_S7_l,"axG",@progbits,_ZN9rocsolver6v33100L11gemm_kernelIdlPKdPdPKS4_S6_EEvT0_S7_S7_T1_bT2_lS7_S7_lbT3_lS7_S7_lS8_T4_lS7_S7_l,comdat
.Lfunc_end44:
	.size	_ZN9rocsolver6v33100L11gemm_kernelIdlPKdPdPKS4_S6_EEvT0_S7_S7_T1_bT2_lS7_S7_lbT3_lS7_S7_lS8_T4_lS7_S7_l, .Lfunc_end44-_ZN9rocsolver6v33100L11gemm_kernelIdlPKdPdPKS4_S6_EEvT0_S7_S7_T1_bT2_lS7_S7_lbT3_lS7_S7_lS8_T4_lS7_S7_l
                                        ; -- End function
	.set _ZN9rocsolver6v33100L11gemm_kernelIdlPKdPdPKS4_S6_EEvT0_S7_S7_T1_bT2_lS7_S7_lbT3_lS7_S7_lS8_T4_lS7_S7_l.num_vgpr, 16
	.set _ZN9rocsolver6v33100L11gemm_kernelIdlPKdPdPKS4_S6_EEvT0_S7_S7_T1_bT2_lS7_S7_lbT3_lS7_S7_lS8_T4_lS7_S7_l.num_agpr, 0
	.set _ZN9rocsolver6v33100L11gemm_kernelIdlPKdPdPKS4_S6_EEvT0_S7_S7_T1_bT2_lS7_S7_lbT3_lS7_S7_lS8_T4_lS7_S7_l.numbered_sgpr, 52
	.set _ZN9rocsolver6v33100L11gemm_kernelIdlPKdPdPKS4_S6_EEvT0_S7_S7_T1_bT2_lS7_S7_lbT3_lS7_S7_lS8_T4_lS7_S7_l.num_named_barrier, 0
	.set _ZN9rocsolver6v33100L11gemm_kernelIdlPKdPdPKS4_S6_EEvT0_S7_S7_T1_bT2_lS7_S7_lbT3_lS7_S7_lS8_T4_lS7_S7_l.private_seg_size, 0
	.set _ZN9rocsolver6v33100L11gemm_kernelIdlPKdPdPKS4_S6_EEvT0_S7_S7_T1_bT2_lS7_S7_lbT3_lS7_S7_lS8_T4_lS7_S7_l.uses_vcc, 1
	.set _ZN9rocsolver6v33100L11gemm_kernelIdlPKdPdPKS4_S6_EEvT0_S7_S7_T1_bT2_lS7_S7_lbT3_lS7_S7_lS8_T4_lS7_S7_l.uses_flat_scratch, 0
	.set _ZN9rocsolver6v33100L11gemm_kernelIdlPKdPdPKS4_S6_EEvT0_S7_S7_T1_bT2_lS7_S7_lbT3_lS7_S7_lS8_T4_lS7_S7_l.has_dyn_sized_stack, 0
	.set _ZN9rocsolver6v33100L11gemm_kernelIdlPKdPdPKS4_S6_EEvT0_S7_S7_T1_bT2_lS7_S7_lbT3_lS7_S7_lS8_T4_lS7_S7_l.has_recursion, 0
	.set _ZN9rocsolver6v33100L11gemm_kernelIdlPKdPdPKS4_S6_EEvT0_S7_S7_T1_bT2_lS7_S7_lbT3_lS7_S7_lS8_T4_lS7_S7_l.has_indirect_call, 0
	.section	.AMDGPU.csdata,"",@progbits
; Kernel info:
; codeLenInByte = 624
; TotalNumSgprs: 56
; NumVgprs: 16
; ScratchSize: 0
; MemoryBound: 0
; FloatMode: 240
; IeeeMode: 1
; LDSByteSize: 0 bytes/workgroup (compile time only)
; SGPRBlocks: 6
; VGPRBlocks: 3
; NumSGPRsForWavesPerEU: 56
; NumVGPRsForWavesPerEU: 16
; Occupancy: 10
; WaveLimiterHint : 1
; COMPUTE_PGM_RSRC2:SCRATCH_EN: 0
; COMPUTE_PGM_RSRC2:USER_SGPR: 6
; COMPUTE_PGM_RSRC2:TRAP_HANDLER: 0
; COMPUTE_PGM_RSRC2:TGID_X_EN: 1
; COMPUTE_PGM_RSRC2:TGID_Y_EN: 1
; COMPUTE_PGM_RSRC2:TGID_Z_EN: 1
; COMPUTE_PGM_RSRC2:TIDIG_COMP_CNT: 1
	.section	.text._ZN9rocsolver6v33100L11gemm_kernelIdldPdPKS2_S4_EEvT0_S5_S5_T1_bT2_lS5_S5_lbT3_lS5_S5_lS6_T4_lS5_S5_l,"axG",@progbits,_ZN9rocsolver6v33100L11gemm_kernelIdldPdPKS2_S4_EEvT0_S5_S5_T1_bT2_lS5_S5_lbT3_lS5_S5_lS6_T4_lS5_S5_l,comdat
	.globl	_ZN9rocsolver6v33100L11gemm_kernelIdldPdPKS2_S4_EEvT0_S5_S5_T1_bT2_lS5_S5_lbT3_lS5_S5_lS6_T4_lS5_S5_l ; -- Begin function _ZN9rocsolver6v33100L11gemm_kernelIdldPdPKS2_S4_EEvT0_S5_S5_T1_bT2_lS5_S5_lbT3_lS5_S5_lS6_T4_lS5_S5_l
	.p2align	8
	.type	_ZN9rocsolver6v33100L11gemm_kernelIdldPdPKS2_S4_EEvT0_S5_S5_T1_bT2_lS5_S5_lbT3_lS5_S5_lS6_T4_lS5_S5_l,@function
_ZN9rocsolver6v33100L11gemm_kernelIdldPdPKS2_S4_EEvT0_S5_S5_T1_bT2_lS5_S5_lbT3_lS5_S5_lS6_T4_lS5_S5_l: ; @_ZN9rocsolver6v33100L11gemm_kernelIdldPdPKS2_S4_EEvT0_S5_S5_T1_bT2_lS5_S5_lbT3_lS5_S5_lS6_T4_lS5_S5_l
; %bb.0:
	s_load_dword s0, s[4:5], 0xbc
	s_load_dwordx8 s[12:19], s[4:5], 0x0
	v_mov_b32_e32 v2, v0
	v_mov_b32_e32 v3, 0
	;; [unrolled: 1-line block ×3, first 2 shown]
	s_waitcnt lgkmcnt(0)
	s_lshr_b32 s2, s0, 16
	s_and_b32 s0, s0, 0xffff
	v_mad_u64_u32 v[4:5], s[0:1], s0, v0, v[2:3]
	v_mov_b32_e32 v2, v3
	v_mov_b32_e32 v0, s7
	v_mad_u64_u32 v[0:1], s[0:1], s2, v0, v[1:2]
	v_cmp_gt_i64_e32 vcc, s[12:13], v[4:5]
	v_cmp_gt_i64_e64 s[0:1], s[14:15], v[0:1]
	s_and_b64 s[0:1], vcc, s[0:1]
	s_and_saveexec_b64 s[2:3], s[0:1]
	s_cbranch_execz .LBB45_6
; %bb.1:
	s_load_dwordx8 s[20:27], s[4:5], 0x80
	s_load_dwordx2 s[0:1], s[4:5], 0xa0
	s_mov_b32 s9, 0
	s_lshl_b64 s[6:7], s[8:9], 3
	v_cmp_lt_i64_e64 s[10:11], s[16:17], 1
	s_waitcnt lgkmcnt(0)
	s_add_u32 s2, s22, s6
	s_addc_u32 s3, s23, s7
	s_load_dwordx2 s[2:3], s[2:3], 0x0
	s_and_b64 vcc, exec, s[10:11]
	s_cbranch_vccnz .LBB45_4
; %bb.2:
	s_load_dwordx8 s[36:43], s[4:5], 0x58
	s_load_dwordx2 s[10:11], s[4:5], 0x48
	s_load_dwordx8 s[44:51], s[4:5], 0x28
	s_waitcnt lgkmcnt(0)
	s_add_u32 s4, s36, s6
	s_mul_i32 s6, s11, s8
	s_mul_hi_u32 s9, s10, s8
	s_addc_u32 s5, s37, s7
	s_add_i32 s7, s9, s6
	s_mul_i32 s6, s10, s8
	s_lshl_b64 s[6:7], s[6:7], 3
	s_load_dwordx2 s[4:5], s[4:5], 0x0
	s_add_u32 s8, s44, s6
	s_addc_u32 s9, s45, s7
	s_lshl_b64 s[6:7], s[46:47], 3
	s_add_u32 s8, s8, s6
	s_addc_u32 s9, s9, s7
	v_mul_lo_u32 v6, v5, s48
	v_mul_lo_u32 v7, v4, s49
	v_mad_u64_u32 v[2:3], s[6:7], v4, s48, 0
	s_lshl_b64 s[6:7], s[38:39], 3
	s_waitcnt lgkmcnt(0)
	s_add_u32 s6, s4, s6
	s_addc_u32 s7, s5, s7
	v_mul_lo_u32 v10, v1, s42
	v_mul_lo_u32 v11, v0, s43
	v_mad_u64_u32 v[8:9], s[4:5], v0, s42, 0
	v_add3_u32 v3, v3, v7, v6
	v_lshlrev_b64 v[2:3], 3, v[2:3]
	v_mov_b32_e32 v7, s9
	v_add_co_u32_e32 v6, vcc, s8, v2
	v_add3_u32 v9, v9, v11, v10
	v_addc_co_u32_e32 v7, vcc, v7, v3, vcc
	v_lshlrev_b64 v[2:3], 3, v[8:9]
	v_mov_b32_e32 v9, s7
	v_add_co_u32_e32 v8, vcc, s6, v2
	v_addc_co_u32_e32 v9, vcc, v9, v3, vcc
	s_lshl_b64 s[4:5], s[40:41], 3
	s_lshl_b64 s[6:7], s[50:51], 3
	v_mov_b32_e32 v2, 0
	v_mov_b32_e32 v3, 0
	;; [unrolled: 1-line block ×4, first 2 shown]
.LBB45_3:                               ; =>This Inner Loop Header: Depth=1
	global_load_dwordx2 v[12:13], v[6:7], off
	flat_load_dwordx2 v[14:15], v[8:9]
	v_add_co_u32_e32 v8, vcc, s4, v8
	v_addc_co_u32_e32 v9, vcc, v9, v10, vcc
	s_add_u32 s16, s16, -1
	v_add_co_u32_e32 v6, vcc, s6, v6
	s_addc_u32 s17, s17, -1
	s_cmp_eq_u64 s[16:17], 0
	v_addc_co_u32_e32 v7, vcc, v7, v11, vcc
	s_waitcnt vmcnt(0) lgkmcnt(0)
	v_fma_f64 v[2:3], v[12:13], v[14:15], v[2:3]
	s_cbranch_scc0 .LBB45_3
	s_branch .LBB45_5
.LBB45_4:
	v_mov_b32_e32 v2, 0
	v_mov_b32_e32 v3, 0
.LBB45_5:
	v_mul_lo_u32 v6, v5, s26
	v_mul_lo_u32 v7, v4, s27
	v_mad_u64_u32 v[4:5], s[6:7], v4, s26, 0
	v_mul_lo_u32 v8, v1, s0
	v_mul_lo_u32 v9, v0, s1
	v_mad_u64_u32 v[0:1], s[0:1], v0, s0, 0
	s_lshl_b64 s[4:5], s[24:25], 3
	v_add3_u32 v5, v5, v7, v6
	s_waitcnt lgkmcnt(0)
	s_add_u32 s0, s2, s4
	v_lshlrev_b64 v[4:5], 3, v[4:5]
	s_addc_u32 s1, s3, s5
	v_add3_u32 v1, v1, v9, v8
	v_mov_b32_e32 v6, s1
	v_add_co_u32_e32 v4, vcc, s0, v4
	v_lshlrev_b64 v[0:1], 3, v[0:1]
	v_addc_co_u32_e32 v5, vcc, v6, v5, vcc
	v_add_co_u32_e32 v0, vcc, v4, v0
	v_addc_co_u32_e32 v1, vcc, v5, v1, vcc
	flat_load_dwordx2 v[4:5], v[0:1]
	s_waitcnt vmcnt(0) lgkmcnt(0)
	v_mul_f64 v[4:5], s[20:21], v[4:5]
	v_fma_f64 v[2:3], s[18:19], v[2:3], v[4:5]
	flat_store_dwordx2 v[0:1], v[2:3]
.LBB45_6:
	s_endpgm
	.section	.rodata,"a",@progbits
	.p2align	6, 0x0
	.amdhsa_kernel _ZN9rocsolver6v33100L11gemm_kernelIdldPdPKS2_S4_EEvT0_S5_S5_T1_bT2_lS5_S5_lbT3_lS5_S5_lS6_T4_lS5_S5_l
		.amdhsa_group_segment_fixed_size 0
		.amdhsa_private_segment_fixed_size 0
		.amdhsa_kernarg_size 432
		.amdhsa_user_sgpr_count 6
		.amdhsa_user_sgpr_private_segment_buffer 1
		.amdhsa_user_sgpr_dispatch_ptr 0
		.amdhsa_user_sgpr_queue_ptr 0
		.amdhsa_user_sgpr_kernarg_segment_ptr 1
		.amdhsa_user_sgpr_dispatch_id 0
		.amdhsa_user_sgpr_flat_scratch_init 0
		.amdhsa_user_sgpr_private_segment_size 0
		.amdhsa_uses_dynamic_stack 0
		.amdhsa_system_sgpr_private_segment_wavefront_offset 0
		.amdhsa_system_sgpr_workgroup_id_x 1
		.amdhsa_system_sgpr_workgroup_id_y 1
		.amdhsa_system_sgpr_workgroup_id_z 1
		.amdhsa_system_sgpr_workgroup_info 0
		.amdhsa_system_vgpr_workitem_id 1
		.amdhsa_next_free_vgpr 16
		.amdhsa_next_free_sgpr 52
		.amdhsa_reserve_vcc 1
		.amdhsa_reserve_flat_scratch 0
		.amdhsa_float_round_mode_32 0
		.amdhsa_float_round_mode_16_64 0
		.amdhsa_float_denorm_mode_32 3
		.amdhsa_float_denorm_mode_16_64 3
		.amdhsa_dx10_clamp 1
		.amdhsa_ieee_mode 1
		.amdhsa_fp16_overflow 0
		.amdhsa_exception_fp_ieee_invalid_op 0
		.amdhsa_exception_fp_denorm_src 0
		.amdhsa_exception_fp_ieee_div_zero 0
		.amdhsa_exception_fp_ieee_overflow 0
		.amdhsa_exception_fp_ieee_underflow 0
		.amdhsa_exception_fp_ieee_inexact 0
		.amdhsa_exception_int_div_zero 0
	.end_amdhsa_kernel
	.section	.text._ZN9rocsolver6v33100L11gemm_kernelIdldPdPKS2_S4_EEvT0_S5_S5_T1_bT2_lS5_S5_lbT3_lS5_S5_lS6_T4_lS5_S5_l,"axG",@progbits,_ZN9rocsolver6v33100L11gemm_kernelIdldPdPKS2_S4_EEvT0_S5_S5_T1_bT2_lS5_S5_lbT3_lS5_S5_lS6_T4_lS5_S5_l,comdat
.Lfunc_end45:
	.size	_ZN9rocsolver6v33100L11gemm_kernelIdldPdPKS2_S4_EEvT0_S5_S5_T1_bT2_lS5_S5_lbT3_lS5_S5_lS6_T4_lS5_S5_l, .Lfunc_end45-_ZN9rocsolver6v33100L11gemm_kernelIdldPdPKS2_S4_EEvT0_S5_S5_T1_bT2_lS5_S5_lbT3_lS5_S5_lS6_T4_lS5_S5_l
                                        ; -- End function
	.set _ZN9rocsolver6v33100L11gemm_kernelIdldPdPKS2_S4_EEvT0_S5_S5_T1_bT2_lS5_S5_lbT3_lS5_S5_lS6_T4_lS5_S5_l.num_vgpr, 16
	.set _ZN9rocsolver6v33100L11gemm_kernelIdldPdPKS2_S4_EEvT0_S5_S5_T1_bT2_lS5_S5_lbT3_lS5_S5_lS6_T4_lS5_S5_l.num_agpr, 0
	.set _ZN9rocsolver6v33100L11gemm_kernelIdldPdPKS2_S4_EEvT0_S5_S5_T1_bT2_lS5_S5_lbT3_lS5_S5_lS6_T4_lS5_S5_l.numbered_sgpr, 52
	.set _ZN9rocsolver6v33100L11gemm_kernelIdldPdPKS2_S4_EEvT0_S5_S5_T1_bT2_lS5_S5_lbT3_lS5_S5_lS6_T4_lS5_S5_l.num_named_barrier, 0
	.set _ZN9rocsolver6v33100L11gemm_kernelIdldPdPKS2_S4_EEvT0_S5_S5_T1_bT2_lS5_S5_lbT3_lS5_S5_lS6_T4_lS5_S5_l.private_seg_size, 0
	.set _ZN9rocsolver6v33100L11gemm_kernelIdldPdPKS2_S4_EEvT0_S5_S5_T1_bT2_lS5_S5_lbT3_lS5_S5_lS6_T4_lS5_S5_l.uses_vcc, 1
	.set _ZN9rocsolver6v33100L11gemm_kernelIdldPdPKS2_S4_EEvT0_S5_S5_T1_bT2_lS5_S5_lbT3_lS5_S5_lS6_T4_lS5_S5_l.uses_flat_scratch, 0
	.set _ZN9rocsolver6v33100L11gemm_kernelIdldPdPKS2_S4_EEvT0_S5_S5_T1_bT2_lS5_S5_lbT3_lS5_S5_lS6_T4_lS5_S5_l.has_dyn_sized_stack, 0
	.set _ZN9rocsolver6v33100L11gemm_kernelIdldPdPKS2_S4_EEvT0_S5_S5_T1_bT2_lS5_S5_lbT3_lS5_S5_lS6_T4_lS5_S5_l.has_recursion, 0
	.set _ZN9rocsolver6v33100L11gemm_kernelIdldPdPKS2_S4_EEvT0_S5_S5_T1_bT2_lS5_S5_lbT3_lS5_S5_lS6_T4_lS5_S5_l.has_indirect_call, 0
	.section	.AMDGPU.csdata,"",@progbits
; Kernel info:
; codeLenInByte = 608
; TotalNumSgprs: 56
; NumVgprs: 16
; ScratchSize: 0
; MemoryBound: 0
; FloatMode: 240
; IeeeMode: 1
; LDSByteSize: 0 bytes/workgroup (compile time only)
; SGPRBlocks: 6
; VGPRBlocks: 3
; NumSGPRsForWavesPerEU: 56
; NumVGPRsForWavesPerEU: 16
; Occupancy: 10
; WaveLimiterHint : 1
; COMPUTE_PGM_RSRC2:SCRATCH_EN: 0
; COMPUTE_PGM_RSRC2:USER_SGPR: 6
; COMPUTE_PGM_RSRC2:TRAP_HANDLER: 0
; COMPUTE_PGM_RSRC2:TGID_X_EN: 1
; COMPUTE_PGM_RSRC2:TGID_Y_EN: 1
; COMPUTE_PGM_RSRC2:TGID_Z_EN: 1
; COMPUTE_PGM_RSRC2:TIDIG_COMP_CNT: 1
	.section	.text._ZN9rocsolver6v33100L16mfma_gemm_kernelIdlPKdPKPdS4_S6_EEv18rocblas_operation_S7_T0_S8_S8_T1_T2_lS8_S8_lT3_lS8_S8_lS9_T4_lS8_S8_l,"axG",@progbits,_ZN9rocsolver6v33100L16mfma_gemm_kernelIdlPKdPKPdS4_S6_EEv18rocblas_operation_S7_T0_S8_S8_T1_T2_lS8_S8_lT3_lS8_S8_lS9_T4_lS8_S8_l,comdat
	.globl	_ZN9rocsolver6v33100L16mfma_gemm_kernelIdlPKdPKPdS4_S6_EEv18rocblas_operation_S7_T0_S8_S8_T1_T2_lS8_S8_lT3_lS8_S8_lS9_T4_lS8_S8_l ; -- Begin function _ZN9rocsolver6v33100L16mfma_gemm_kernelIdlPKdPKPdS4_S6_EEv18rocblas_operation_S7_T0_S8_S8_T1_T2_lS8_S8_lT3_lS8_S8_lS9_T4_lS8_S8_l
	.p2align	8
	.type	_ZN9rocsolver6v33100L16mfma_gemm_kernelIdlPKdPKPdS4_S6_EEv18rocblas_operation_S7_T0_S8_S8_T1_T2_lS8_S8_lT3_lS8_S8_lS9_T4_lS8_S8_l,@function
_ZN9rocsolver6v33100L16mfma_gemm_kernelIdlPKdPKPdS4_S6_EEv18rocblas_operation_S7_T0_S8_S8_T1_T2_lS8_S8_lT3_lS8_S8_lS9_T4_lS8_S8_l: ; @_ZN9rocsolver6v33100L16mfma_gemm_kernelIdlPKdPKPdS4_S6_EEv18rocblas_operation_S7_T0_S8_S8_T1_T2_lS8_S8_lT3_lS8_S8_lS9_T4_lS8_S8_l
; %bb.0:
	s_endpgm
	.section	.rodata,"a",@progbits
	.p2align	6, 0x0
	.amdhsa_kernel _ZN9rocsolver6v33100L16mfma_gemm_kernelIdlPKdPKPdS4_S6_EEv18rocblas_operation_S7_T0_S8_S8_T1_T2_lS8_S8_lT3_lS8_S8_lS9_T4_lS8_S8_l
		.amdhsa_group_segment_fixed_size 0
		.amdhsa_private_segment_fixed_size 0
		.amdhsa_kernarg_size 168
		.amdhsa_user_sgpr_count 6
		.amdhsa_user_sgpr_private_segment_buffer 1
		.amdhsa_user_sgpr_dispatch_ptr 0
		.amdhsa_user_sgpr_queue_ptr 0
		.amdhsa_user_sgpr_kernarg_segment_ptr 1
		.amdhsa_user_sgpr_dispatch_id 0
		.amdhsa_user_sgpr_flat_scratch_init 0
		.amdhsa_user_sgpr_private_segment_size 0
		.amdhsa_uses_dynamic_stack 0
		.amdhsa_system_sgpr_private_segment_wavefront_offset 0
		.amdhsa_system_sgpr_workgroup_id_x 1
		.amdhsa_system_sgpr_workgroup_id_y 0
		.amdhsa_system_sgpr_workgroup_id_z 0
		.amdhsa_system_sgpr_workgroup_info 0
		.amdhsa_system_vgpr_workitem_id 0
		.amdhsa_next_free_vgpr 1
		.amdhsa_next_free_sgpr 0
		.amdhsa_reserve_vcc 0
		.amdhsa_reserve_flat_scratch 0
		.amdhsa_float_round_mode_32 0
		.amdhsa_float_round_mode_16_64 0
		.amdhsa_float_denorm_mode_32 3
		.amdhsa_float_denorm_mode_16_64 3
		.amdhsa_dx10_clamp 1
		.amdhsa_ieee_mode 1
		.amdhsa_fp16_overflow 0
		.amdhsa_exception_fp_ieee_invalid_op 0
		.amdhsa_exception_fp_denorm_src 0
		.amdhsa_exception_fp_ieee_div_zero 0
		.amdhsa_exception_fp_ieee_overflow 0
		.amdhsa_exception_fp_ieee_underflow 0
		.amdhsa_exception_fp_ieee_inexact 0
		.amdhsa_exception_int_div_zero 0
	.end_amdhsa_kernel
	.section	.text._ZN9rocsolver6v33100L16mfma_gemm_kernelIdlPKdPKPdS4_S6_EEv18rocblas_operation_S7_T0_S8_S8_T1_T2_lS8_S8_lT3_lS8_S8_lS9_T4_lS8_S8_l,"axG",@progbits,_ZN9rocsolver6v33100L16mfma_gemm_kernelIdlPKdPKPdS4_S6_EEv18rocblas_operation_S7_T0_S8_S8_T1_T2_lS8_S8_lT3_lS8_S8_lS9_T4_lS8_S8_l,comdat
.Lfunc_end46:
	.size	_ZN9rocsolver6v33100L16mfma_gemm_kernelIdlPKdPKPdS4_S6_EEv18rocblas_operation_S7_T0_S8_S8_T1_T2_lS8_S8_lT3_lS8_S8_lS9_T4_lS8_S8_l, .Lfunc_end46-_ZN9rocsolver6v33100L16mfma_gemm_kernelIdlPKdPKPdS4_S6_EEv18rocblas_operation_S7_T0_S8_S8_T1_T2_lS8_S8_lT3_lS8_S8_lS9_T4_lS8_S8_l
                                        ; -- End function
	.set _ZN9rocsolver6v33100L16mfma_gemm_kernelIdlPKdPKPdS4_S6_EEv18rocblas_operation_S7_T0_S8_S8_T1_T2_lS8_S8_lT3_lS8_S8_lS9_T4_lS8_S8_l.num_vgpr, 0
	.set _ZN9rocsolver6v33100L16mfma_gemm_kernelIdlPKdPKPdS4_S6_EEv18rocblas_operation_S7_T0_S8_S8_T1_T2_lS8_S8_lT3_lS8_S8_lS9_T4_lS8_S8_l.num_agpr, 0
	.set _ZN9rocsolver6v33100L16mfma_gemm_kernelIdlPKdPKPdS4_S6_EEv18rocblas_operation_S7_T0_S8_S8_T1_T2_lS8_S8_lT3_lS8_S8_lS9_T4_lS8_S8_l.numbered_sgpr, 0
	.set _ZN9rocsolver6v33100L16mfma_gemm_kernelIdlPKdPKPdS4_S6_EEv18rocblas_operation_S7_T0_S8_S8_T1_T2_lS8_S8_lT3_lS8_S8_lS9_T4_lS8_S8_l.num_named_barrier, 0
	.set _ZN9rocsolver6v33100L16mfma_gemm_kernelIdlPKdPKPdS4_S6_EEv18rocblas_operation_S7_T0_S8_S8_T1_T2_lS8_S8_lT3_lS8_S8_lS9_T4_lS8_S8_l.private_seg_size, 0
	.set _ZN9rocsolver6v33100L16mfma_gemm_kernelIdlPKdPKPdS4_S6_EEv18rocblas_operation_S7_T0_S8_S8_T1_T2_lS8_S8_lT3_lS8_S8_lS9_T4_lS8_S8_l.uses_vcc, 0
	.set _ZN9rocsolver6v33100L16mfma_gemm_kernelIdlPKdPKPdS4_S6_EEv18rocblas_operation_S7_T0_S8_S8_T1_T2_lS8_S8_lT3_lS8_S8_lS9_T4_lS8_S8_l.uses_flat_scratch, 0
	.set _ZN9rocsolver6v33100L16mfma_gemm_kernelIdlPKdPKPdS4_S6_EEv18rocblas_operation_S7_T0_S8_S8_T1_T2_lS8_S8_lT3_lS8_S8_lS9_T4_lS8_S8_l.has_dyn_sized_stack, 0
	.set _ZN9rocsolver6v33100L16mfma_gemm_kernelIdlPKdPKPdS4_S6_EEv18rocblas_operation_S7_T0_S8_S8_T1_T2_lS8_S8_lT3_lS8_S8_lS9_T4_lS8_S8_l.has_recursion, 0
	.set _ZN9rocsolver6v33100L16mfma_gemm_kernelIdlPKdPKPdS4_S6_EEv18rocblas_operation_S7_T0_S8_S8_T1_T2_lS8_S8_lT3_lS8_S8_lS9_T4_lS8_S8_l.has_indirect_call, 0
	.section	.AMDGPU.csdata,"",@progbits
; Kernel info:
; codeLenInByte = 4
; TotalNumSgprs: 4
; NumVgprs: 0
; ScratchSize: 0
; MemoryBound: 0
; FloatMode: 240
; IeeeMode: 1
; LDSByteSize: 0 bytes/workgroup (compile time only)
; SGPRBlocks: 0
; VGPRBlocks: 0
; NumSGPRsForWavesPerEU: 4
; NumVGPRsForWavesPerEU: 1
; Occupancy: 10
; WaveLimiterHint : 0
; COMPUTE_PGM_RSRC2:SCRATCH_EN: 0
; COMPUTE_PGM_RSRC2:USER_SGPR: 6
; COMPUTE_PGM_RSRC2:TRAP_HANDLER: 0
; COMPUTE_PGM_RSRC2:TGID_X_EN: 1
; COMPUTE_PGM_RSRC2:TGID_Y_EN: 0
; COMPUTE_PGM_RSRC2:TGID_Z_EN: 0
; COMPUTE_PGM_RSRC2:TIDIG_COMP_CNT: 0
	.section	.text._ZN9rocsolver6v33100L16mfma_gemm_kernelIdldPKPdS2_S4_EEv18rocblas_operation_S5_T0_S6_S6_T1_T2_lS6_S6_lT3_lS6_S6_lS7_T4_lS6_S6_l,"axG",@progbits,_ZN9rocsolver6v33100L16mfma_gemm_kernelIdldPKPdS2_S4_EEv18rocblas_operation_S5_T0_S6_S6_T1_T2_lS6_S6_lT3_lS6_S6_lS7_T4_lS6_S6_l,comdat
	.globl	_ZN9rocsolver6v33100L16mfma_gemm_kernelIdldPKPdS2_S4_EEv18rocblas_operation_S5_T0_S6_S6_T1_T2_lS6_S6_lT3_lS6_S6_lS7_T4_lS6_S6_l ; -- Begin function _ZN9rocsolver6v33100L16mfma_gemm_kernelIdldPKPdS2_S4_EEv18rocblas_operation_S5_T0_S6_S6_T1_T2_lS6_S6_lT3_lS6_S6_lS7_T4_lS6_S6_l
	.p2align	8
	.type	_ZN9rocsolver6v33100L16mfma_gemm_kernelIdldPKPdS2_S4_EEv18rocblas_operation_S5_T0_S6_S6_T1_T2_lS6_S6_lT3_lS6_S6_lS7_T4_lS6_S6_l,@function
_ZN9rocsolver6v33100L16mfma_gemm_kernelIdldPKPdS2_S4_EEv18rocblas_operation_S5_T0_S6_S6_T1_T2_lS6_S6_lT3_lS6_S6_lS7_T4_lS6_S6_l: ; @_ZN9rocsolver6v33100L16mfma_gemm_kernelIdldPKPdS2_S4_EEv18rocblas_operation_S5_T0_S6_S6_T1_T2_lS6_S6_lT3_lS6_S6_lS7_T4_lS6_S6_l
; %bb.0:
	s_endpgm
	.section	.rodata,"a",@progbits
	.p2align	6, 0x0
	.amdhsa_kernel _ZN9rocsolver6v33100L16mfma_gemm_kernelIdldPKPdS2_S4_EEv18rocblas_operation_S5_T0_S6_S6_T1_T2_lS6_S6_lT3_lS6_S6_lS7_T4_lS6_S6_l
		.amdhsa_group_segment_fixed_size 0
		.amdhsa_private_segment_fixed_size 0
		.amdhsa_kernarg_size 168
		.amdhsa_user_sgpr_count 6
		.amdhsa_user_sgpr_private_segment_buffer 1
		.amdhsa_user_sgpr_dispatch_ptr 0
		.amdhsa_user_sgpr_queue_ptr 0
		.amdhsa_user_sgpr_kernarg_segment_ptr 1
		.amdhsa_user_sgpr_dispatch_id 0
		.amdhsa_user_sgpr_flat_scratch_init 0
		.amdhsa_user_sgpr_private_segment_size 0
		.amdhsa_uses_dynamic_stack 0
		.amdhsa_system_sgpr_private_segment_wavefront_offset 0
		.amdhsa_system_sgpr_workgroup_id_x 1
		.amdhsa_system_sgpr_workgroup_id_y 0
		.amdhsa_system_sgpr_workgroup_id_z 0
		.amdhsa_system_sgpr_workgroup_info 0
		.amdhsa_system_vgpr_workitem_id 0
		.amdhsa_next_free_vgpr 1
		.amdhsa_next_free_sgpr 0
		.amdhsa_reserve_vcc 0
		.amdhsa_reserve_flat_scratch 0
		.amdhsa_float_round_mode_32 0
		.amdhsa_float_round_mode_16_64 0
		.amdhsa_float_denorm_mode_32 3
		.amdhsa_float_denorm_mode_16_64 3
		.amdhsa_dx10_clamp 1
		.amdhsa_ieee_mode 1
		.amdhsa_fp16_overflow 0
		.amdhsa_exception_fp_ieee_invalid_op 0
		.amdhsa_exception_fp_denorm_src 0
		.amdhsa_exception_fp_ieee_div_zero 0
		.amdhsa_exception_fp_ieee_overflow 0
		.amdhsa_exception_fp_ieee_underflow 0
		.amdhsa_exception_fp_ieee_inexact 0
		.amdhsa_exception_int_div_zero 0
	.end_amdhsa_kernel
	.section	.text._ZN9rocsolver6v33100L16mfma_gemm_kernelIdldPKPdS2_S4_EEv18rocblas_operation_S5_T0_S6_S6_T1_T2_lS6_S6_lT3_lS6_S6_lS7_T4_lS6_S6_l,"axG",@progbits,_ZN9rocsolver6v33100L16mfma_gemm_kernelIdldPKPdS2_S4_EEv18rocblas_operation_S5_T0_S6_S6_T1_T2_lS6_S6_lT3_lS6_S6_lS7_T4_lS6_S6_l,comdat
.Lfunc_end47:
	.size	_ZN9rocsolver6v33100L16mfma_gemm_kernelIdldPKPdS2_S4_EEv18rocblas_operation_S5_T0_S6_S6_T1_T2_lS6_S6_lT3_lS6_S6_lS7_T4_lS6_S6_l, .Lfunc_end47-_ZN9rocsolver6v33100L16mfma_gemm_kernelIdldPKPdS2_S4_EEv18rocblas_operation_S5_T0_S6_S6_T1_T2_lS6_S6_lT3_lS6_S6_lS7_T4_lS6_S6_l
                                        ; -- End function
	.set _ZN9rocsolver6v33100L16mfma_gemm_kernelIdldPKPdS2_S4_EEv18rocblas_operation_S5_T0_S6_S6_T1_T2_lS6_S6_lT3_lS6_S6_lS7_T4_lS6_S6_l.num_vgpr, 0
	.set _ZN9rocsolver6v33100L16mfma_gemm_kernelIdldPKPdS2_S4_EEv18rocblas_operation_S5_T0_S6_S6_T1_T2_lS6_S6_lT3_lS6_S6_lS7_T4_lS6_S6_l.num_agpr, 0
	.set _ZN9rocsolver6v33100L16mfma_gemm_kernelIdldPKPdS2_S4_EEv18rocblas_operation_S5_T0_S6_S6_T1_T2_lS6_S6_lT3_lS6_S6_lS7_T4_lS6_S6_l.numbered_sgpr, 0
	.set _ZN9rocsolver6v33100L16mfma_gemm_kernelIdldPKPdS2_S4_EEv18rocblas_operation_S5_T0_S6_S6_T1_T2_lS6_S6_lT3_lS6_S6_lS7_T4_lS6_S6_l.num_named_barrier, 0
	.set _ZN9rocsolver6v33100L16mfma_gemm_kernelIdldPKPdS2_S4_EEv18rocblas_operation_S5_T0_S6_S6_T1_T2_lS6_S6_lT3_lS6_S6_lS7_T4_lS6_S6_l.private_seg_size, 0
	.set _ZN9rocsolver6v33100L16mfma_gemm_kernelIdldPKPdS2_S4_EEv18rocblas_operation_S5_T0_S6_S6_T1_T2_lS6_S6_lT3_lS6_S6_lS7_T4_lS6_S6_l.uses_vcc, 0
	.set _ZN9rocsolver6v33100L16mfma_gemm_kernelIdldPKPdS2_S4_EEv18rocblas_operation_S5_T0_S6_S6_T1_T2_lS6_S6_lT3_lS6_S6_lS7_T4_lS6_S6_l.uses_flat_scratch, 0
	.set _ZN9rocsolver6v33100L16mfma_gemm_kernelIdldPKPdS2_S4_EEv18rocblas_operation_S5_T0_S6_S6_T1_T2_lS6_S6_lT3_lS6_S6_lS7_T4_lS6_S6_l.has_dyn_sized_stack, 0
	.set _ZN9rocsolver6v33100L16mfma_gemm_kernelIdldPKPdS2_S4_EEv18rocblas_operation_S5_T0_S6_S6_T1_T2_lS6_S6_lT3_lS6_S6_lS7_T4_lS6_S6_l.has_recursion, 0
	.set _ZN9rocsolver6v33100L16mfma_gemm_kernelIdldPKPdS2_S4_EEv18rocblas_operation_S5_T0_S6_S6_T1_T2_lS6_S6_lT3_lS6_S6_lS7_T4_lS6_S6_l.has_indirect_call, 0
	.section	.AMDGPU.csdata,"",@progbits
; Kernel info:
; codeLenInByte = 4
; TotalNumSgprs: 4
; NumVgprs: 0
; ScratchSize: 0
; MemoryBound: 0
; FloatMode: 240
; IeeeMode: 1
; LDSByteSize: 0 bytes/workgroup (compile time only)
; SGPRBlocks: 0
; VGPRBlocks: 0
; NumSGPRsForWavesPerEU: 4
; NumVGPRsForWavesPerEU: 1
; Occupancy: 10
; WaveLimiterHint : 0
; COMPUTE_PGM_RSRC2:SCRATCH_EN: 0
; COMPUTE_PGM_RSRC2:USER_SGPR: 6
; COMPUTE_PGM_RSRC2:TRAP_HANDLER: 0
; COMPUTE_PGM_RSRC2:TGID_X_EN: 1
; COMPUTE_PGM_RSRC2:TGID_Y_EN: 0
; COMPUTE_PGM_RSRC2:TGID_Z_EN: 0
; COMPUTE_PGM_RSRC2:TIDIG_COMP_CNT: 0
	.section	.text._ZN9rocsolver6v33100L11gemm_kernelIdlPKdPKPdS4_S6_EEvT0_S7_S7_T1_bT2_lS7_S7_lbT3_lS7_S7_lS8_T4_lS7_S7_l,"axG",@progbits,_ZN9rocsolver6v33100L11gemm_kernelIdlPKdPKPdS4_S6_EEvT0_S7_S7_T1_bT2_lS7_S7_lbT3_lS7_S7_lS8_T4_lS7_S7_l,comdat
	.globl	_ZN9rocsolver6v33100L11gemm_kernelIdlPKdPKPdS4_S6_EEvT0_S7_S7_T1_bT2_lS7_S7_lbT3_lS7_S7_lS8_T4_lS7_S7_l ; -- Begin function _ZN9rocsolver6v33100L11gemm_kernelIdlPKdPKPdS4_S6_EEvT0_S7_S7_T1_bT2_lS7_S7_lbT3_lS7_S7_lS8_T4_lS7_S7_l
	.p2align	8
	.type	_ZN9rocsolver6v33100L11gemm_kernelIdlPKdPKPdS4_S6_EEvT0_S7_S7_T1_bT2_lS7_S7_lbT3_lS7_S7_lS8_T4_lS7_S7_l,@function
_ZN9rocsolver6v33100L11gemm_kernelIdlPKdPKPdS4_S6_EEvT0_S7_S7_T1_bT2_lS7_S7_lbT3_lS7_S7_lS8_T4_lS7_S7_l: ; @_ZN9rocsolver6v33100L11gemm_kernelIdlPKdPKPdS4_S6_EEvT0_S7_S7_T1_bT2_lS7_S7_lbT3_lS7_S7_lS8_T4_lS7_S7_l
; %bb.0:
	s_load_dword s0, s[4:5], 0xbc
	s_load_dwordx8 s[24:31], s[4:5], 0x0
	v_mov_b32_e32 v2, v0
	v_mov_b32_e32 v3, 0
	;; [unrolled: 1-line block ×3, first 2 shown]
	s_waitcnt lgkmcnt(0)
	s_lshr_b32 s2, s0, 16
	s_and_b32 s0, s0, 0xffff
	v_mad_u64_u32 v[4:5], s[0:1], s0, v0, v[2:3]
	v_mov_b32_e32 v2, v3
	v_mov_b32_e32 v0, s7
	v_mad_u64_u32 v[0:1], s[0:1], s2, v0, v[1:2]
	v_cmp_gt_i64_e32 vcc, s[24:25], v[4:5]
	v_cmp_gt_i64_e64 s[0:1], s[26:27], v[0:1]
	s_and_b64 s[0:1], vcc, s[0:1]
	s_and_saveexec_b64 s[2:3], s[0:1]
	s_cbranch_execz .LBB48_6
; %bb.1:
	s_load_dwordx16 s[12:27], s[4:5], 0x58
	s_mov_b32 s9, 0
	s_lshl_b64 s[2:3], s[8:9], 3
	v_cmp_lt_i64_e64 s[6:7], s[28:29], 1
	s_waitcnt lgkmcnt(0)
	s_add_u32 s0, s24, s2
	s_addc_u32 s1, s25, s3
	s_load_dwordx2 s[0:1], s[0:1], 0x0
	s_and_b64 vcc, exec, s[6:7]
	s_cbranch_vccnz .LBB48_4
; %bb.2:
	s_load_dwordx8 s[36:43], s[4:5], 0x28
	s_mul_i32 s7, s21, s8
	s_mul_hi_u32 s10, s20, s8
	s_mul_i32 s6, s20, s8
	v_mul_lo_u32 v10, v1, s18
	s_waitcnt lgkmcnt(0)
	s_add_u32 s2, s36, s2
	s_addc_u32 s3, s37, s3
	s_load_dwordx2 s[2:3], s[2:3], 0x0
	s_lshl_b64 s[8:9], s[38:39], 3
	v_mul_lo_u32 v6, v5, s40
	v_mul_lo_u32 v7, v4, s41
	;; [unrolled: 1-line block ×3, first 2 shown]
	s_waitcnt lgkmcnt(0)
	s_add_u32 s8, s2, s8
	s_addc_u32 s9, s3, s9
	s_add_i32 s7, s10, s7
	s_lshl_b64 s[2:3], s[6:7], 3
	s_add_u32 s6, s12, s2
	s_addc_u32 s7, s13, s3
	v_mad_u64_u32 v[2:3], s[2:3], v4, s40, 0
	s_lshl_b64 s[2:3], s[14:15], 3
	s_add_u32 s6, s6, s2
	s_addc_u32 s7, s7, s3
	v_mad_u64_u32 v[8:9], s[2:3], v0, s18, 0
	v_add3_u32 v3, v3, v7, v6
	v_lshlrev_b64 v[2:3], 3, v[2:3]
	v_mov_b32_e32 v7, s9
	v_add_co_u32_e32 v6, vcc, s8, v2
	v_add3_u32 v9, v9, v11, v10
	v_addc_co_u32_e32 v7, vcc, v7, v3, vcc
	v_lshlrev_b64 v[2:3], 3, v[8:9]
	v_mov_b32_e32 v9, s7
	v_add_co_u32_e32 v8, vcc, s6, v2
	v_addc_co_u32_e32 v9, vcc, v9, v3, vcc
	s_lshl_b64 s[2:3], s[16:17], 3
	s_lshl_b64 s[6:7], s[42:43], 3
	v_mov_b32_e32 v2, 0
	v_mov_b32_e32 v3, 0
	;; [unrolled: 1-line block ×4, first 2 shown]
.LBB48_3:                               ; =>This Inner Loop Header: Depth=1
	flat_load_dwordx2 v[12:13], v[6:7]
	global_load_dwordx2 v[14:15], v[8:9], off
	v_add_co_u32_e32 v8, vcc, s2, v8
	v_addc_co_u32_e32 v9, vcc, v9, v10, vcc
	s_add_u32 s28, s28, -1
	v_add_co_u32_e32 v6, vcc, s6, v6
	s_addc_u32 s29, s29, -1
	s_cmp_eq_u64 s[28:29], 0
	v_addc_co_u32_e32 v7, vcc, v7, v11, vcc
	s_waitcnt vmcnt(0) lgkmcnt(0)
	v_fma_f64 v[2:3], v[12:13], v[14:15], v[2:3]
	s_cbranch_scc0 .LBB48_3
	s_branch .LBB48_5
.LBB48_4:
	v_mov_b32_e32 v2, 0
	v_mov_b32_e32 v3, 0
.LBB48_5:
	s_load_dwordx2 s[2:3], s[30:31], 0x0
	s_load_dwordx2 s[6:7], s[22:23], 0x0
                                        ; kill: killed $sgpr22_sgpr23
                                        ; kill: killed $sgpr30_sgpr31
	s_load_dwordx4 s[8:11], s[4:5], 0x98
	s_lshl_b64 s[4:5], s[26:27], 3
	s_waitcnt lgkmcnt(0)
	s_add_u32 s0, s0, s4
	s_addc_u32 s1, s1, s5
	v_mul_lo_u32 v6, v5, s8
	v_mul_lo_u32 v7, v4, s9
	v_mad_u64_u32 v[4:5], s[8:9], v4, s8, 0
	v_mul_lo_u32 v8, v1, s10
	v_mul_lo_u32 v9, v0, s11
	v_mad_u64_u32 v[0:1], s[8:9], v0, s10, 0
	v_add3_u32 v5, v5, v7, v6
	v_lshlrev_b64 v[4:5], 3, v[4:5]
	v_add3_u32 v1, v1, v9, v8
	v_mov_b32_e32 v6, s1
	v_add_co_u32_e32 v4, vcc, s0, v4
	v_lshlrev_b64 v[0:1], 3, v[0:1]
	v_addc_co_u32_e32 v5, vcc, v6, v5, vcc
	v_add_co_u32_e32 v0, vcc, v4, v0
	v_addc_co_u32_e32 v1, vcc, v5, v1, vcc
	flat_load_dwordx2 v[4:5], v[0:1]
	s_waitcnt vmcnt(0) lgkmcnt(0)
	v_mul_f64 v[4:5], s[6:7], v[4:5]
	v_fma_f64 v[2:3], s[2:3], v[2:3], v[4:5]
	flat_store_dwordx2 v[0:1], v[2:3]
.LBB48_6:
	s_endpgm
	.section	.rodata,"a",@progbits
	.p2align	6, 0x0
	.amdhsa_kernel _ZN9rocsolver6v33100L11gemm_kernelIdlPKdPKPdS4_S6_EEvT0_S7_S7_T1_bT2_lS7_S7_lbT3_lS7_S7_lS8_T4_lS7_S7_l
		.amdhsa_group_segment_fixed_size 0
		.amdhsa_private_segment_fixed_size 0
		.amdhsa_kernarg_size 432
		.amdhsa_user_sgpr_count 6
		.amdhsa_user_sgpr_private_segment_buffer 1
		.amdhsa_user_sgpr_dispatch_ptr 0
		.amdhsa_user_sgpr_queue_ptr 0
		.amdhsa_user_sgpr_kernarg_segment_ptr 1
		.amdhsa_user_sgpr_dispatch_id 0
		.amdhsa_user_sgpr_flat_scratch_init 0
		.amdhsa_user_sgpr_private_segment_size 0
		.amdhsa_uses_dynamic_stack 0
		.amdhsa_system_sgpr_private_segment_wavefront_offset 0
		.amdhsa_system_sgpr_workgroup_id_x 1
		.amdhsa_system_sgpr_workgroup_id_y 1
		.amdhsa_system_sgpr_workgroup_id_z 1
		.amdhsa_system_sgpr_workgroup_info 0
		.amdhsa_system_vgpr_workitem_id 1
		.amdhsa_next_free_vgpr 16
		.amdhsa_next_free_sgpr 44
		.amdhsa_reserve_vcc 1
		.amdhsa_reserve_flat_scratch 0
		.amdhsa_float_round_mode_32 0
		.amdhsa_float_round_mode_16_64 0
		.amdhsa_float_denorm_mode_32 3
		.amdhsa_float_denorm_mode_16_64 3
		.amdhsa_dx10_clamp 1
		.amdhsa_ieee_mode 1
		.amdhsa_fp16_overflow 0
		.amdhsa_exception_fp_ieee_invalid_op 0
		.amdhsa_exception_fp_denorm_src 0
		.amdhsa_exception_fp_ieee_div_zero 0
		.amdhsa_exception_fp_ieee_overflow 0
		.amdhsa_exception_fp_ieee_underflow 0
		.amdhsa_exception_fp_ieee_inexact 0
		.amdhsa_exception_int_div_zero 0
	.end_amdhsa_kernel
	.section	.text._ZN9rocsolver6v33100L11gemm_kernelIdlPKdPKPdS4_S6_EEvT0_S7_S7_T1_bT2_lS7_S7_lbT3_lS7_S7_lS8_T4_lS7_S7_l,"axG",@progbits,_ZN9rocsolver6v33100L11gemm_kernelIdlPKdPKPdS4_S6_EEvT0_S7_S7_T1_bT2_lS7_S7_lbT3_lS7_S7_lS8_T4_lS7_S7_l,comdat
.Lfunc_end48:
	.size	_ZN9rocsolver6v33100L11gemm_kernelIdlPKdPKPdS4_S6_EEvT0_S7_S7_T1_bT2_lS7_S7_lbT3_lS7_S7_lS8_T4_lS7_S7_l, .Lfunc_end48-_ZN9rocsolver6v33100L11gemm_kernelIdlPKdPKPdS4_S6_EEvT0_S7_S7_T1_bT2_lS7_S7_lbT3_lS7_S7_lS8_T4_lS7_S7_l
                                        ; -- End function
	.set _ZN9rocsolver6v33100L11gemm_kernelIdlPKdPKPdS4_S6_EEvT0_S7_S7_T1_bT2_lS7_S7_lbT3_lS7_S7_lS8_T4_lS7_S7_l.num_vgpr, 16
	.set _ZN9rocsolver6v33100L11gemm_kernelIdlPKdPKPdS4_S6_EEvT0_S7_S7_T1_bT2_lS7_S7_lbT3_lS7_S7_lS8_T4_lS7_S7_l.num_agpr, 0
	.set _ZN9rocsolver6v33100L11gemm_kernelIdlPKdPKPdS4_S6_EEvT0_S7_S7_T1_bT2_lS7_S7_lbT3_lS7_S7_lS8_T4_lS7_S7_l.numbered_sgpr, 44
	.set _ZN9rocsolver6v33100L11gemm_kernelIdlPKdPKPdS4_S6_EEvT0_S7_S7_T1_bT2_lS7_S7_lbT3_lS7_S7_lS8_T4_lS7_S7_l.num_named_barrier, 0
	.set _ZN9rocsolver6v33100L11gemm_kernelIdlPKdPKPdS4_S6_EEvT0_S7_S7_T1_bT2_lS7_S7_lbT3_lS7_S7_lS8_T4_lS7_S7_l.private_seg_size, 0
	.set _ZN9rocsolver6v33100L11gemm_kernelIdlPKdPKPdS4_S6_EEvT0_S7_S7_T1_bT2_lS7_S7_lbT3_lS7_S7_lS8_T4_lS7_S7_l.uses_vcc, 1
	.set _ZN9rocsolver6v33100L11gemm_kernelIdlPKdPKPdS4_S6_EEvT0_S7_S7_T1_bT2_lS7_S7_lbT3_lS7_S7_lS8_T4_lS7_S7_l.uses_flat_scratch, 0
	.set _ZN9rocsolver6v33100L11gemm_kernelIdlPKdPKPdS4_S6_EEvT0_S7_S7_T1_bT2_lS7_S7_lbT3_lS7_S7_lS8_T4_lS7_S7_l.has_dyn_sized_stack, 0
	.set _ZN9rocsolver6v33100L11gemm_kernelIdlPKdPKPdS4_S6_EEvT0_S7_S7_T1_bT2_lS7_S7_lbT3_lS7_S7_lS8_T4_lS7_S7_l.has_recursion, 0
	.set _ZN9rocsolver6v33100L11gemm_kernelIdlPKdPKPdS4_S6_EEvT0_S7_S7_T1_bT2_lS7_S7_lbT3_lS7_S7_lS8_T4_lS7_S7_l.has_indirect_call, 0
	.section	.AMDGPU.csdata,"",@progbits
; Kernel info:
; codeLenInByte = 608
; TotalNumSgprs: 48
; NumVgprs: 16
; ScratchSize: 0
; MemoryBound: 0
; FloatMode: 240
; IeeeMode: 1
; LDSByteSize: 0 bytes/workgroup (compile time only)
; SGPRBlocks: 5
; VGPRBlocks: 3
; NumSGPRsForWavesPerEU: 48
; NumVGPRsForWavesPerEU: 16
; Occupancy: 10
; WaveLimiterHint : 1
; COMPUTE_PGM_RSRC2:SCRATCH_EN: 0
; COMPUTE_PGM_RSRC2:USER_SGPR: 6
; COMPUTE_PGM_RSRC2:TRAP_HANDLER: 0
; COMPUTE_PGM_RSRC2:TGID_X_EN: 1
; COMPUTE_PGM_RSRC2:TGID_Y_EN: 1
; COMPUTE_PGM_RSRC2:TGID_Z_EN: 1
; COMPUTE_PGM_RSRC2:TIDIG_COMP_CNT: 1
	.section	.text._ZN9rocsolver6v33100L11gemm_kernelIdldPKPdS2_S4_EEvT0_S5_S5_T1_bT2_lS5_S5_lbT3_lS5_S5_lS6_T4_lS5_S5_l,"axG",@progbits,_ZN9rocsolver6v33100L11gemm_kernelIdldPKPdS2_S4_EEvT0_S5_S5_T1_bT2_lS5_S5_lbT3_lS5_S5_lS6_T4_lS5_S5_l,comdat
	.globl	_ZN9rocsolver6v33100L11gemm_kernelIdldPKPdS2_S4_EEvT0_S5_S5_T1_bT2_lS5_S5_lbT3_lS5_S5_lS6_T4_lS5_S5_l ; -- Begin function _ZN9rocsolver6v33100L11gemm_kernelIdldPKPdS2_S4_EEvT0_S5_S5_T1_bT2_lS5_S5_lbT3_lS5_S5_lS6_T4_lS5_S5_l
	.p2align	8
	.type	_ZN9rocsolver6v33100L11gemm_kernelIdldPKPdS2_S4_EEvT0_S5_S5_T1_bT2_lS5_S5_lbT3_lS5_S5_lS6_T4_lS5_S5_l,@function
_ZN9rocsolver6v33100L11gemm_kernelIdldPKPdS2_S4_EEvT0_S5_S5_T1_bT2_lS5_S5_lbT3_lS5_S5_lS6_T4_lS5_S5_l: ; @_ZN9rocsolver6v33100L11gemm_kernelIdldPKPdS2_S4_EEvT0_S5_S5_T1_bT2_lS5_S5_lbT3_lS5_S5_lS6_T4_lS5_S5_l
; %bb.0:
	s_load_dword s0, s[4:5], 0xbc
	s_load_dwordx8 s[24:31], s[4:5], 0x0
	v_mov_b32_e32 v2, v0
	v_mov_b32_e32 v3, 0
	;; [unrolled: 1-line block ×3, first 2 shown]
	s_waitcnt lgkmcnt(0)
	s_lshr_b32 s2, s0, 16
	s_and_b32 s0, s0, 0xffff
	v_mad_u64_u32 v[4:5], s[0:1], s0, v0, v[2:3]
	v_mov_b32_e32 v2, v3
	v_mov_b32_e32 v0, s7
	v_mad_u64_u32 v[0:1], s[0:1], s2, v0, v[1:2]
	v_cmp_gt_i64_e32 vcc, s[24:25], v[4:5]
	v_cmp_gt_i64_e64 s[0:1], s[26:27], v[0:1]
	s_and_b64 s[0:1], vcc, s[0:1]
	s_and_saveexec_b64 s[2:3], s[0:1]
	s_cbranch_execz .LBB49_6
; %bb.1:
	s_load_dwordx16 s[12:27], s[4:5], 0x58
	s_mov_b32 s9, 0
	s_lshl_b64 s[2:3], s[8:9], 3
	v_cmp_lt_i64_e64 s[6:7], s[28:29], 1
	s_waitcnt lgkmcnt(0)
	s_add_u32 s0, s24, s2
	s_addc_u32 s1, s25, s3
	s_load_dwordx2 s[0:1], s[0:1], 0x0
	s_and_b64 vcc, exec, s[6:7]
	s_cbranch_vccnz .LBB49_4
; %bb.2:
	s_load_dwordx8 s[36:43], s[4:5], 0x28
	s_mul_i32 s7, s21, s8
	s_mul_hi_u32 s10, s20, s8
	s_mul_i32 s6, s20, s8
	v_mul_lo_u32 v10, v1, s18
	s_waitcnt lgkmcnt(0)
	s_add_u32 s2, s36, s2
	s_addc_u32 s3, s37, s3
	s_load_dwordx2 s[2:3], s[2:3], 0x0
	s_lshl_b64 s[8:9], s[38:39], 3
	v_mul_lo_u32 v6, v5, s40
	v_mul_lo_u32 v7, v4, s41
	;; [unrolled: 1-line block ×3, first 2 shown]
	s_waitcnt lgkmcnt(0)
	s_add_u32 s8, s2, s8
	s_addc_u32 s9, s3, s9
	s_add_i32 s7, s10, s7
	s_lshl_b64 s[2:3], s[6:7], 3
	s_add_u32 s6, s12, s2
	s_addc_u32 s7, s13, s3
	v_mad_u64_u32 v[2:3], s[2:3], v4, s40, 0
	s_lshl_b64 s[2:3], s[14:15], 3
	s_add_u32 s6, s6, s2
	s_addc_u32 s7, s7, s3
	v_mad_u64_u32 v[8:9], s[2:3], v0, s18, 0
	v_add3_u32 v3, v3, v7, v6
	v_lshlrev_b64 v[2:3], 3, v[2:3]
	v_mov_b32_e32 v7, s9
	v_add_co_u32_e32 v6, vcc, s8, v2
	v_add3_u32 v9, v9, v11, v10
	v_addc_co_u32_e32 v7, vcc, v7, v3, vcc
	v_lshlrev_b64 v[2:3], 3, v[8:9]
	v_mov_b32_e32 v9, s7
	v_add_co_u32_e32 v8, vcc, s6, v2
	v_addc_co_u32_e32 v9, vcc, v9, v3, vcc
	s_lshl_b64 s[2:3], s[16:17], 3
	s_lshl_b64 s[6:7], s[42:43], 3
	v_mov_b32_e32 v2, 0
	v_mov_b32_e32 v3, 0
	;; [unrolled: 1-line block ×4, first 2 shown]
.LBB49_3:                               ; =>This Inner Loop Header: Depth=1
	flat_load_dwordx2 v[12:13], v[6:7]
	global_load_dwordx2 v[14:15], v[8:9], off
	v_add_co_u32_e32 v8, vcc, s2, v8
	v_addc_co_u32_e32 v9, vcc, v9, v10, vcc
	s_add_u32 s28, s28, -1
	v_add_co_u32_e32 v6, vcc, s6, v6
	s_addc_u32 s29, s29, -1
	s_cmp_eq_u64 s[28:29], 0
	v_addc_co_u32_e32 v7, vcc, v7, v11, vcc
	s_waitcnt vmcnt(0) lgkmcnt(0)
	v_fma_f64 v[2:3], v[12:13], v[14:15], v[2:3]
	s_cbranch_scc0 .LBB49_3
	s_branch .LBB49_5
.LBB49_4:
	v_mov_b32_e32 v2, 0
	v_mov_b32_e32 v3, 0
.LBB49_5:
	s_load_dwordx4 s[8:11], s[4:5], 0x98
	s_lshl_b64 s[2:3], s[26:27], 3
	s_waitcnt lgkmcnt(0)
	s_add_u32 s0, s0, s2
	s_addc_u32 s1, s1, s3
	v_mul_lo_u32 v6, v5, s8
	v_mul_lo_u32 v7, v4, s9
	v_mad_u64_u32 v[4:5], s[4:5], v4, s8, 0
	v_mul_lo_u32 v8, v1, s10
	v_mul_lo_u32 v9, v0, s11
	v_mad_u64_u32 v[0:1], s[4:5], v0, s10, 0
	v_add3_u32 v5, v5, v7, v6
	v_lshlrev_b64 v[4:5], 3, v[4:5]
	v_add3_u32 v1, v1, v9, v8
	v_mov_b32_e32 v6, s1
	v_add_co_u32_e32 v4, vcc, s0, v4
	v_lshlrev_b64 v[0:1], 3, v[0:1]
	v_addc_co_u32_e32 v5, vcc, v6, v5, vcc
	v_add_co_u32_e32 v0, vcc, v4, v0
	v_addc_co_u32_e32 v1, vcc, v5, v1, vcc
	flat_load_dwordx2 v[4:5], v[0:1]
	s_waitcnt vmcnt(0) lgkmcnt(0)
	v_mul_f64 v[4:5], s[22:23], v[4:5]
	v_fma_f64 v[2:3], s[30:31], v[2:3], v[4:5]
	flat_store_dwordx2 v[0:1], v[2:3]
.LBB49_6:
	s_endpgm
	.section	.rodata,"a",@progbits
	.p2align	6, 0x0
	.amdhsa_kernel _ZN9rocsolver6v33100L11gemm_kernelIdldPKPdS2_S4_EEvT0_S5_S5_T1_bT2_lS5_S5_lbT3_lS5_S5_lS6_T4_lS5_S5_l
		.amdhsa_group_segment_fixed_size 0
		.amdhsa_private_segment_fixed_size 0
		.amdhsa_kernarg_size 432
		.amdhsa_user_sgpr_count 6
		.amdhsa_user_sgpr_private_segment_buffer 1
		.amdhsa_user_sgpr_dispatch_ptr 0
		.amdhsa_user_sgpr_queue_ptr 0
		.amdhsa_user_sgpr_kernarg_segment_ptr 1
		.amdhsa_user_sgpr_dispatch_id 0
		.amdhsa_user_sgpr_flat_scratch_init 0
		.amdhsa_user_sgpr_private_segment_size 0
		.amdhsa_uses_dynamic_stack 0
		.amdhsa_system_sgpr_private_segment_wavefront_offset 0
		.amdhsa_system_sgpr_workgroup_id_x 1
		.amdhsa_system_sgpr_workgroup_id_y 1
		.amdhsa_system_sgpr_workgroup_id_z 1
		.amdhsa_system_sgpr_workgroup_info 0
		.amdhsa_system_vgpr_workitem_id 1
		.amdhsa_next_free_vgpr 16
		.amdhsa_next_free_sgpr 44
		.amdhsa_reserve_vcc 1
		.amdhsa_reserve_flat_scratch 0
		.amdhsa_float_round_mode_32 0
		.amdhsa_float_round_mode_16_64 0
		.amdhsa_float_denorm_mode_32 3
		.amdhsa_float_denorm_mode_16_64 3
		.amdhsa_dx10_clamp 1
		.amdhsa_ieee_mode 1
		.amdhsa_fp16_overflow 0
		.amdhsa_exception_fp_ieee_invalid_op 0
		.amdhsa_exception_fp_denorm_src 0
		.amdhsa_exception_fp_ieee_div_zero 0
		.amdhsa_exception_fp_ieee_overflow 0
		.amdhsa_exception_fp_ieee_underflow 0
		.amdhsa_exception_fp_ieee_inexact 0
		.amdhsa_exception_int_div_zero 0
	.end_amdhsa_kernel
	.section	.text._ZN9rocsolver6v33100L11gemm_kernelIdldPKPdS2_S4_EEvT0_S5_S5_T1_bT2_lS5_S5_lbT3_lS5_S5_lS6_T4_lS5_S5_l,"axG",@progbits,_ZN9rocsolver6v33100L11gemm_kernelIdldPKPdS2_S4_EEvT0_S5_S5_T1_bT2_lS5_S5_lbT3_lS5_S5_lS6_T4_lS5_S5_l,comdat
.Lfunc_end49:
	.size	_ZN9rocsolver6v33100L11gemm_kernelIdldPKPdS2_S4_EEvT0_S5_S5_T1_bT2_lS5_S5_lbT3_lS5_S5_lS6_T4_lS5_S5_l, .Lfunc_end49-_ZN9rocsolver6v33100L11gemm_kernelIdldPKPdS2_S4_EEvT0_S5_S5_T1_bT2_lS5_S5_lbT3_lS5_S5_lS6_T4_lS5_S5_l
                                        ; -- End function
	.set _ZN9rocsolver6v33100L11gemm_kernelIdldPKPdS2_S4_EEvT0_S5_S5_T1_bT2_lS5_S5_lbT3_lS5_S5_lS6_T4_lS5_S5_l.num_vgpr, 16
	.set _ZN9rocsolver6v33100L11gemm_kernelIdldPKPdS2_S4_EEvT0_S5_S5_T1_bT2_lS5_S5_lbT3_lS5_S5_lS6_T4_lS5_S5_l.num_agpr, 0
	.set _ZN9rocsolver6v33100L11gemm_kernelIdldPKPdS2_S4_EEvT0_S5_S5_T1_bT2_lS5_S5_lbT3_lS5_S5_lS6_T4_lS5_S5_l.numbered_sgpr, 44
	.set _ZN9rocsolver6v33100L11gemm_kernelIdldPKPdS2_S4_EEvT0_S5_S5_T1_bT2_lS5_S5_lbT3_lS5_S5_lS6_T4_lS5_S5_l.num_named_barrier, 0
	.set _ZN9rocsolver6v33100L11gemm_kernelIdldPKPdS2_S4_EEvT0_S5_S5_T1_bT2_lS5_S5_lbT3_lS5_S5_lS6_T4_lS5_S5_l.private_seg_size, 0
	.set _ZN9rocsolver6v33100L11gemm_kernelIdldPKPdS2_S4_EEvT0_S5_S5_T1_bT2_lS5_S5_lbT3_lS5_S5_lS6_T4_lS5_S5_l.uses_vcc, 1
	.set _ZN9rocsolver6v33100L11gemm_kernelIdldPKPdS2_S4_EEvT0_S5_S5_T1_bT2_lS5_S5_lbT3_lS5_S5_lS6_T4_lS5_S5_l.uses_flat_scratch, 0
	.set _ZN9rocsolver6v33100L11gemm_kernelIdldPKPdS2_S4_EEvT0_S5_S5_T1_bT2_lS5_S5_lbT3_lS5_S5_lS6_T4_lS5_S5_l.has_dyn_sized_stack, 0
	.set _ZN9rocsolver6v33100L11gemm_kernelIdldPKPdS2_S4_EEvT0_S5_S5_T1_bT2_lS5_S5_lbT3_lS5_S5_lS6_T4_lS5_S5_l.has_recursion, 0
	.set _ZN9rocsolver6v33100L11gemm_kernelIdldPKPdS2_S4_EEvT0_S5_S5_T1_bT2_lS5_S5_lbT3_lS5_S5_lS6_T4_lS5_S5_l.has_indirect_call, 0
	.section	.AMDGPU.csdata,"",@progbits
; Kernel info:
; codeLenInByte = 592
; TotalNumSgprs: 48
; NumVgprs: 16
; ScratchSize: 0
; MemoryBound: 0
; FloatMode: 240
; IeeeMode: 1
; LDSByteSize: 0 bytes/workgroup (compile time only)
; SGPRBlocks: 5
; VGPRBlocks: 3
; NumSGPRsForWavesPerEU: 48
; NumVGPRsForWavesPerEU: 16
; Occupancy: 10
; WaveLimiterHint : 1
; COMPUTE_PGM_RSRC2:SCRATCH_EN: 0
; COMPUTE_PGM_RSRC2:USER_SGPR: 6
; COMPUTE_PGM_RSRC2:TRAP_HANDLER: 0
; COMPUTE_PGM_RSRC2:TGID_X_EN: 1
; COMPUTE_PGM_RSRC2:TGID_Y_EN: 1
; COMPUTE_PGM_RSRC2:TGID_Z_EN: 1
; COMPUTE_PGM_RSRC2:TIDIG_COMP_CNT: 1
	.section	.text._ZN9rocsolver6v33100L16mfma_gemm_kernelIdlPKdPKPdS6_S4_EEv18rocblas_operation_S7_T0_S8_S8_T1_T2_lS8_S8_lT3_lS8_S8_lS9_T4_lS8_S8_l,"axG",@progbits,_ZN9rocsolver6v33100L16mfma_gemm_kernelIdlPKdPKPdS6_S4_EEv18rocblas_operation_S7_T0_S8_S8_T1_T2_lS8_S8_lT3_lS8_S8_lS9_T4_lS8_S8_l,comdat
	.globl	_ZN9rocsolver6v33100L16mfma_gemm_kernelIdlPKdPKPdS6_S4_EEv18rocblas_operation_S7_T0_S8_S8_T1_T2_lS8_S8_lT3_lS8_S8_lS9_T4_lS8_S8_l ; -- Begin function _ZN9rocsolver6v33100L16mfma_gemm_kernelIdlPKdPKPdS6_S4_EEv18rocblas_operation_S7_T0_S8_S8_T1_T2_lS8_S8_lT3_lS8_S8_lS9_T4_lS8_S8_l
	.p2align	8
	.type	_ZN9rocsolver6v33100L16mfma_gemm_kernelIdlPKdPKPdS6_S4_EEv18rocblas_operation_S7_T0_S8_S8_T1_T2_lS8_S8_lT3_lS8_S8_lS9_T4_lS8_S8_l,@function
_ZN9rocsolver6v33100L16mfma_gemm_kernelIdlPKdPKPdS6_S4_EEv18rocblas_operation_S7_T0_S8_S8_T1_T2_lS8_S8_lT3_lS8_S8_lS9_T4_lS8_S8_l: ; @_ZN9rocsolver6v33100L16mfma_gemm_kernelIdlPKdPKPdS6_S4_EEv18rocblas_operation_S7_T0_S8_S8_T1_T2_lS8_S8_lT3_lS8_S8_lS9_T4_lS8_S8_l
; %bb.0:
	s_endpgm
	.section	.rodata,"a",@progbits
	.p2align	6, 0x0
	.amdhsa_kernel _ZN9rocsolver6v33100L16mfma_gemm_kernelIdlPKdPKPdS6_S4_EEv18rocblas_operation_S7_T0_S8_S8_T1_T2_lS8_S8_lT3_lS8_S8_lS9_T4_lS8_S8_l
		.amdhsa_group_segment_fixed_size 0
		.amdhsa_private_segment_fixed_size 0
		.amdhsa_kernarg_size 168
		.amdhsa_user_sgpr_count 6
		.amdhsa_user_sgpr_private_segment_buffer 1
		.amdhsa_user_sgpr_dispatch_ptr 0
		.amdhsa_user_sgpr_queue_ptr 0
		.amdhsa_user_sgpr_kernarg_segment_ptr 1
		.amdhsa_user_sgpr_dispatch_id 0
		.amdhsa_user_sgpr_flat_scratch_init 0
		.amdhsa_user_sgpr_private_segment_size 0
		.amdhsa_uses_dynamic_stack 0
		.amdhsa_system_sgpr_private_segment_wavefront_offset 0
		.amdhsa_system_sgpr_workgroup_id_x 1
		.amdhsa_system_sgpr_workgroup_id_y 0
		.amdhsa_system_sgpr_workgroup_id_z 0
		.amdhsa_system_sgpr_workgroup_info 0
		.amdhsa_system_vgpr_workitem_id 0
		.amdhsa_next_free_vgpr 1
		.amdhsa_next_free_sgpr 0
		.amdhsa_reserve_vcc 0
		.amdhsa_reserve_flat_scratch 0
		.amdhsa_float_round_mode_32 0
		.amdhsa_float_round_mode_16_64 0
		.amdhsa_float_denorm_mode_32 3
		.amdhsa_float_denorm_mode_16_64 3
		.amdhsa_dx10_clamp 1
		.amdhsa_ieee_mode 1
		.amdhsa_fp16_overflow 0
		.amdhsa_exception_fp_ieee_invalid_op 0
		.amdhsa_exception_fp_denorm_src 0
		.amdhsa_exception_fp_ieee_div_zero 0
		.amdhsa_exception_fp_ieee_overflow 0
		.amdhsa_exception_fp_ieee_underflow 0
		.amdhsa_exception_fp_ieee_inexact 0
		.amdhsa_exception_int_div_zero 0
	.end_amdhsa_kernel
	.section	.text._ZN9rocsolver6v33100L16mfma_gemm_kernelIdlPKdPKPdS6_S4_EEv18rocblas_operation_S7_T0_S8_S8_T1_T2_lS8_S8_lT3_lS8_S8_lS9_T4_lS8_S8_l,"axG",@progbits,_ZN9rocsolver6v33100L16mfma_gemm_kernelIdlPKdPKPdS6_S4_EEv18rocblas_operation_S7_T0_S8_S8_T1_T2_lS8_S8_lT3_lS8_S8_lS9_T4_lS8_S8_l,comdat
.Lfunc_end50:
	.size	_ZN9rocsolver6v33100L16mfma_gemm_kernelIdlPKdPKPdS6_S4_EEv18rocblas_operation_S7_T0_S8_S8_T1_T2_lS8_S8_lT3_lS8_S8_lS9_T4_lS8_S8_l, .Lfunc_end50-_ZN9rocsolver6v33100L16mfma_gemm_kernelIdlPKdPKPdS6_S4_EEv18rocblas_operation_S7_T0_S8_S8_T1_T2_lS8_S8_lT3_lS8_S8_lS9_T4_lS8_S8_l
                                        ; -- End function
	.set _ZN9rocsolver6v33100L16mfma_gemm_kernelIdlPKdPKPdS6_S4_EEv18rocblas_operation_S7_T0_S8_S8_T1_T2_lS8_S8_lT3_lS8_S8_lS9_T4_lS8_S8_l.num_vgpr, 0
	.set _ZN9rocsolver6v33100L16mfma_gemm_kernelIdlPKdPKPdS6_S4_EEv18rocblas_operation_S7_T0_S8_S8_T1_T2_lS8_S8_lT3_lS8_S8_lS9_T4_lS8_S8_l.num_agpr, 0
	.set _ZN9rocsolver6v33100L16mfma_gemm_kernelIdlPKdPKPdS6_S4_EEv18rocblas_operation_S7_T0_S8_S8_T1_T2_lS8_S8_lT3_lS8_S8_lS9_T4_lS8_S8_l.numbered_sgpr, 0
	.set _ZN9rocsolver6v33100L16mfma_gemm_kernelIdlPKdPKPdS6_S4_EEv18rocblas_operation_S7_T0_S8_S8_T1_T2_lS8_S8_lT3_lS8_S8_lS9_T4_lS8_S8_l.num_named_barrier, 0
	.set _ZN9rocsolver6v33100L16mfma_gemm_kernelIdlPKdPKPdS6_S4_EEv18rocblas_operation_S7_T0_S8_S8_T1_T2_lS8_S8_lT3_lS8_S8_lS9_T4_lS8_S8_l.private_seg_size, 0
	.set _ZN9rocsolver6v33100L16mfma_gemm_kernelIdlPKdPKPdS6_S4_EEv18rocblas_operation_S7_T0_S8_S8_T1_T2_lS8_S8_lT3_lS8_S8_lS9_T4_lS8_S8_l.uses_vcc, 0
	.set _ZN9rocsolver6v33100L16mfma_gemm_kernelIdlPKdPKPdS6_S4_EEv18rocblas_operation_S7_T0_S8_S8_T1_T2_lS8_S8_lT3_lS8_S8_lS9_T4_lS8_S8_l.uses_flat_scratch, 0
	.set _ZN9rocsolver6v33100L16mfma_gemm_kernelIdlPKdPKPdS6_S4_EEv18rocblas_operation_S7_T0_S8_S8_T1_T2_lS8_S8_lT3_lS8_S8_lS9_T4_lS8_S8_l.has_dyn_sized_stack, 0
	.set _ZN9rocsolver6v33100L16mfma_gemm_kernelIdlPKdPKPdS6_S4_EEv18rocblas_operation_S7_T0_S8_S8_T1_T2_lS8_S8_lT3_lS8_S8_lS9_T4_lS8_S8_l.has_recursion, 0
	.set _ZN9rocsolver6v33100L16mfma_gemm_kernelIdlPKdPKPdS6_S4_EEv18rocblas_operation_S7_T0_S8_S8_T1_T2_lS8_S8_lT3_lS8_S8_lS9_T4_lS8_S8_l.has_indirect_call, 0
	.section	.AMDGPU.csdata,"",@progbits
; Kernel info:
; codeLenInByte = 4
; TotalNumSgprs: 4
; NumVgprs: 0
; ScratchSize: 0
; MemoryBound: 0
; FloatMode: 240
; IeeeMode: 1
; LDSByteSize: 0 bytes/workgroup (compile time only)
; SGPRBlocks: 0
; VGPRBlocks: 0
; NumSGPRsForWavesPerEU: 4
; NumVGPRsForWavesPerEU: 1
; Occupancy: 10
; WaveLimiterHint : 0
; COMPUTE_PGM_RSRC2:SCRATCH_EN: 0
; COMPUTE_PGM_RSRC2:USER_SGPR: 6
; COMPUTE_PGM_RSRC2:TRAP_HANDLER: 0
; COMPUTE_PGM_RSRC2:TGID_X_EN: 1
; COMPUTE_PGM_RSRC2:TGID_Y_EN: 0
; COMPUTE_PGM_RSRC2:TGID_Z_EN: 0
; COMPUTE_PGM_RSRC2:TIDIG_COMP_CNT: 0
	.section	.text._ZN9rocsolver6v33100L16mfma_gemm_kernelIdldPKPdS4_S2_EEv18rocblas_operation_S5_T0_S6_S6_T1_T2_lS6_S6_lT3_lS6_S6_lS7_T4_lS6_S6_l,"axG",@progbits,_ZN9rocsolver6v33100L16mfma_gemm_kernelIdldPKPdS4_S2_EEv18rocblas_operation_S5_T0_S6_S6_T1_T2_lS6_S6_lT3_lS6_S6_lS7_T4_lS6_S6_l,comdat
	.globl	_ZN9rocsolver6v33100L16mfma_gemm_kernelIdldPKPdS4_S2_EEv18rocblas_operation_S5_T0_S6_S6_T1_T2_lS6_S6_lT3_lS6_S6_lS7_T4_lS6_S6_l ; -- Begin function _ZN9rocsolver6v33100L16mfma_gemm_kernelIdldPKPdS4_S2_EEv18rocblas_operation_S5_T0_S6_S6_T1_T2_lS6_S6_lT3_lS6_S6_lS7_T4_lS6_S6_l
	.p2align	8
	.type	_ZN9rocsolver6v33100L16mfma_gemm_kernelIdldPKPdS4_S2_EEv18rocblas_operation_S5_T0_S6_S6_T1_T2_lS6_S6_lT3_lS6_S6_lS7_T4_lS6_S6_l,@function
_ZN9rocsolver6v33100L16mfma_gemm_kernelIdldPKPdS4_S2_EEv18rocblas_operation_S5_T0_S6_S6_T1_T2_lS6_S6_lT3_lS6_S6_lS7_T4_lS6_S6_l: ; @_ZN9rocsolver6v33100L16mfma_gemm_kernelIdldPKPdS4_S2_EEv18rocblas_operation_S5_T0_S6_S6_T1_T2_lS6_S6_lT3_lS6_S6_lS7_T4_lS6_S6_l
; %bb.0:
	s_endpgm
	.section	.rodata,"a",@progbits
	.p2align	6, 0x0
	.amdhsa_kernel _ZN9rocsolver6v33100L16mfma_gemm_kernelIdldPKPdS4_S2_EEv18rocblas_operation_S5_T0_S6_S6_T1_T2_lS6_S6_lT3_lS6_S6_lS7_T4_lS6_S6_l
		.amdhsa_group_segment_fixed_size 0
		.amdhsa_private_segment_fixed_size 0
		.amdhsa_kernarg_size 168
		.amdhsa_user_sgpr_count 6
		.amdhsa_user_sgpr_private_segment_buffer 1
		.amdhsa_user_sgpr_dispatch_ptr 0
		.amdhsa_user_sgpr_queue_ptr 0
		.amdhsa_user_sgpr_kernarg_segment_ptr 1
		.amdhsa_user_sgpr_dispatch_id 0
		.amdhsa_user_sgpr_flat_scratch_init 0
		.amdhsa_user_sgpr_private_segment_size 0
		.amdhsa_uses_dynamic_stack 0
		.amdhsa_system_sgpr_private_segment_wavefront_offset 0
		.amdhsa_system_sgpr_workgroup_id_x 1
		.amdhsa_system_sgpr_workgroup_id_y 0
		.amdhsa_system_sgpr_workgroup_id_z 0
		.amdhsa_system_sgpr_workgroup_info 0
		.amdhsa_system_vgpr_workitem_id 0
		.amdhsa_next_free_vgpr 1
		.amdhsa_next_free_sgpr 0
		.amdhsa_reserve_vcc 0
		.amdhsa_reserve_flat_scratch 0
		.amdhsa_float_round_mode_32 0
		.amdhsa_float_round_mode_16_64 0
		.amdhsa_float_denorm_mode_32 3
		.amdhsa_float_denorm_mode_16_64 3
		.amdhsa_dx10_clamp 1
		.amdhsa_ieee_mode 1
		.amdhsa_fp16_overflow 0
		.amdhsa_exception_fp_ieee_invalid_op 0
		.amdhsa_exception_fp_denorm_src 0
		.amdhsa_exception_fp_ieee_div_zero 0
		.amdhsa_exception_fp_ieee_overflow 0
		.amdhsa_exception_fp_ieee_underflow 0
		.amdhsa_exception_fp_ieee_inexact 0
		.amdhsa_exception_int_div_zero 0
	.end_amdhsa_kernel
	.section	.text._ZN9rocsolver6v33100L16mfma_gemm_kernelIdldPKPdS4_S2_EEv18rocblas_operation_S5_T0_S6_S6_T1_T2_lS6_S6_lT3_lS6_S6_lS7_T4_lS6_S6_l,"axG",@progbits,_ZN9rocsolver6v33100L16mfma_gemm_kernelIdldPKPdS4_S2_EEv18rocblas_operation_S5_T0_S6_S6_T1_T2_lS6_S6_lT3_lS6_S6_lS7_T4_lS6_S6_l,comdat
.Lfunc_end51:
	.size	_ZN9rocsolver6v33100L16mfma_gemm_kernelIdldPKPdS4_S2_EEv18rocblas_operation_S5_T0_S6_S6_T1_T2_lS6_S6_lT3_lS6_S6_lS7_T4_lS6_S6_l, .Lfunc_end51-_ZN9rocsolver6v33100L16mfma_gemm_kernelIdldPKPdS4_S2_EEv18rocblas_operation_S5_T0_S6_S6_T1_T2_lS6_S6_lT3_lS6_S6_lS7_T4_lS6_S6_l
                                        ; -- End function
	.set _ZN9rocsolver6v33100L16mfma_gemm_kernelIdldPKPdS4_S2_EEv18rocblas_operation_S5_T0_S6_S6_T1_T2_lS6_S6_lT3_lS6_S6_lS7_T4_lS6_S6_l.num_vgpr, 0
	.set _ZN9rocsolver6v33100L16mfma_gemm_kernelIdldPKPdS4_S2_EEv18rocblas_operation_S5_T0_S6_S6_T1_T2_lS6_S6_lT3_lS6_S6_lS7_T4_lS6_S6_l.num_agpr, 0
	.set _ZN9rocsolver6v33100L16mfma_gemm_kernelIdldPKPdS4_S2_EEv18rocblas_operation_S5_T0_S6_S6_T1_T2_lS6_S6_lT3_lS6_S6_lS7_T4_lS6_S6_l.numbered_sgpr, 0
	.set _ZN9rocsolver6v33100L16mfma_gemm_kernelIdldPKPdS4_S2_EEv18rocblas_operation_S5_T0_S6_S6_T1_T2_lS6_S6_lT3_lS6_S6_lS7_T4_lS6_S6_l.num_named_barrier, 0
	.set _ZN9rocsolver6v33100L16mfma_gemm_kernelIdldPKPdS4_S2_EEv18rocblas_operation_S5_T0_S6_S6_T1_T2_lS6_S6_lT3_lS6_S6_lS7_T4_lS6_S6_l.private_seg_size, 0
	.set _ZN9rocsolver6v33100L16mfma_gemm_kernelIdldPKPdS4_S2_EEv18rocblas_operation_S5_T0_S6_S6_T1_T2_lS6_S6_lT3_lS6_S6_lS7_T4_lS6_S6_l.uses_vcc, 0
	.set _ZN9rocsolver6v33100L16mfma_gemm_kernelIdldPKPdS4_S2_EEv18rocblas_operation_S5_T0_S6_S6_T1_T2_lS6_S6_lT3_lS6_S6_lS7_T4_lS6_S6_l.uses_flat_scratch, 0
	.set _ZN9rocsolver6v33100L16mfma_gemm_kernelIdldPKPdS4_S2_EEv18rocblas_operation_S5_T0_S6_S6_T1_T2_lS6_S6_lT3_lS6_S6_lS7_T4_lS6_S6_l.has_dyn_sized_stack, 0
	.set _ZN9rocsolver6v33100L16mfma_gemm_kernelIdldPKPdS4_S2_EEv18rocblas_operation_S5_T0_S6_S6_T1_T2_lS6_S6_lT3_lS6_S6_lS7_T4_lS6_S6_l.has_recursion, 0
	.set _ZN9rocsolver6v33100L16mfma_gemm_kernelIdldPKPdS4_S2_EEv18rocblas_operation_S5_T0_S6_S6_T1_T2_lS6_S6_lT3_lS6_S6_lS7_T4_lS6_S6_l.has_indirect_call, 0
	.section	.AMDGPU.csdata,"",@progbits
; Kernel info:
; codeLenInByte = 4
; TotalNumSgprs: 4
; NumVgprs: 0
; ScratchSize: 0
; MemoryBound: 0
; FloatMode: 240
; IeeeMode: 1
; LDSByteSize: 0 bytes/workgroup (compile time only)
; SGPRBlocks: 0
; VGPRBlocks: 0
; NumSGPRsForWavesPerEU: 4
; NumVGPRsForWavesPerEU: 1
; Occupancy: 10
; WaveLimiterHint : 0
; COMPUTE_PGM_RSRC2:SCRATCH_EN: 0
; COMPUTE_PGM_RSRC2:USER_SGPR: 6
; COMPUTE_PGM_RSRC2:TRAP_HANDLER: 0
; COMPUTE_PGM_RSRC2:TGID_X_EN: 1
; COMPUTE_PGM_RSRC2:TGID_Y_EN: 0
; COMPUTE_PGM_RSRC2:TGID_Z_EN: 0
; COMPUTE_PGM_RSRC2:TIDIG_COMP_CNT: 0
	.section	.text._ZN9rocsolver6v33100L11gemm_kernelIdlPKdPKPdS6_S4_EEvT0_S7_S7_T1_bT2_lS7_S7_lbT3_lS7_S7_lS8_T4_lS7_S7_l,"axG",@progbits,_ZN9rocsolver6v33100L11gemm_kernelIdlPKdPKPdS6_S4_EEvT0_S7_S7_T1_bT2_lS7_S7_lbT3_lS7_S7_lS8_T4_lS7_S7_l,comdat
	.globl	_ZN9rocsolver6v33100L11gemm_kernelIdlPKdPKPdS6_S4_EEvT0_S7_S7_T1_bT2_lS7_S7_lbT3_lS7_S7_lS8_T4_lS7_S7_l ; -- Begin function _ZN9rocsolver6v33100L11gemm_kernelIdlPKdPKPdS6_S4_EEvT0_S7_S7_T1_bT2_lS7_S7_lbT3_lS7_S7_lS8_T4_lS7_S7_l
	.p2align	8
	.type	_ZN9rocsolver6v33100L11gemm_kernelIdlPKdPKPdS6_S4_EEvT0_S7_S7_T1_bT2_lS7_S7_lbT3_lS7_S7_lS8_T4_lS7_S7_l,@function
_ZN9rocsolver6v33100L11gemm_kernelIdlPKdPKPdS6_S4_EEvT0_S7_S7_T1_bT2_lS7_S7_lbT3_lS7_S7_lS8_T4_lS7_S7_l: ; @_ZN9rocsolver6v33100L11gemm_kernelIdlPKdPKPdS6_S4_EEvT0_S7_S7_T1_bT2_lS7_S7_lbT3_lS7_S7_lS8_T4_lS7_S7_l
; %bb.0:
	s_load_dword s0, s[4:5], 0xbc
	s_load_dwordx8 s[12:19], s[4:5], 0x0
	v_mov_b32_e32 v2, v0
	v_mov_b32_e32 v3, 0
	;; [unrolled: 1-line block ×3, first 2 shown]
	s_waitcnt lgkmcnt(0)
	s_lshr_b32 s2, s0, 16
	s_and_b32 s0, s0, 0xffff
	v_mad_u64_u32 v[4:5], s[0:1], s0, v0, v[2:3]
	v_mov_b32_e32 v2, v3
	v_mov_b32_e32 v0, s7
	v_mad_u64_u32 v[0:1], s[0:1], s2, v0, v[1:2]
	v_cmp_gt_i64_e32 vcc, s[12:13], v[4:5]
	v_cmp_gt_i64_e64 s[0:1], s[14:15], v[0:1]
	s_and_b64 s[0:1], vcc, s[0:1]
	s_and_saveexec_b64 s[2:3], s[0:1]
	s_cbranch_execz .LBB52_6
; %bb.1:
	s_load_dwordx8 s[20:27], s[4:5], 0x80
	s_load_dwordx4 s[0:3], s[4:5], 0xa0
	v_cmp_lt_i64_e64 s[6:7], s[16:17], 1
	s_mov_b32 s9, 0
	s_and_b64 vcc, exec, s[6:7]
	s_cbranch_vccnz .LBB52_4
; %bb.2:
	s_load_dwordx8 s[36:43], s[4:5], 0x28
	s_load_dwordx8 s[44:51], s[4:5], 0x58
	s_lshl_b64 s[4:5], s[8:9], 3
	s_waitcnt lgkmcnt(0)
	s_add_u32 s6, s36, s4
	s_addc_u32 s7, s37, s5
	s_load_dwordx2 s[6:7], s[6:7], 0x0
	s_add_u32 s4, s44, s4
	s_addc_u32 s5, s45, s5
	s_load_dwordx2 s[4:5], s[4:5], 0x0
	s_lshl_b64 s[10:11], s[38:39], 3
	s_waitcnt lgkmcnt(0)
	s_add_u32 s9, s6, s10
	v_mul_lo_u32 v6, v5, s40
	v_mul_lo_u32 v7, v4, s41
	s_addc_u32 s10, s7, s11
	v_mad_u64_u32 v[2:3], s[6:7], v4, s40, 0
	s_lshl_b64 s[6:7], s[46:47], 3
	s_add_u32 s6, s4, s6
	s_addc_u32 s7, s5, s7
	v_mul_lo_u32 v10, v1, s50
	v_mul_lo_u32 v11, v0, s51
	v_mad_u64_u32 v[8:9], s[4:5], v0, s50, 0
	v_add3_u32 v3, v3, v7, v6
	v_lshlrev_b64 v[2:3], 3, v[2:3]
	v_mov_b32_e32 v7, s10
	v_add_co_u32_e32 v6, vcc, s9, v2
	v_add3_u32 v9, v9, v11, v10
	v_addc_co_u32_e32 v7, vcc, v7, v3, vcc
	v_lshlrev_b64 v[2:3], 3, v[8:9]
	v_mov_b32_e32 v9, s7
	v_add_co_u32_e32 v8, vcc, s6, v2
	v_addc_co_u32_e32 v9, vcc, v9, v3, vcc
	s_lshl_b64 s[4:5], s[48:49], 3
	s_lshl_b64 s[6:7], s[42:43], 3
	v_mov_b32_e32 v2, 0
	v_mov_b32_e32 v3, 0
	;; [unrolled: 1-line block ×4, first 2 shown]
.LBB52_3:                               ; =>This Inner Loop Header: Depth=1
	flat_load_dwordx2 v[12:13], v[6:7]
	flat_load_dwordx2 v[14:15], v[8:9]
	v_add_co_u32_e32 v8, vcc, s4, v8
	v_addc_co_u32_e32 v9, vcc, v9, v10, vcc
	s_add_u32 s16, s16, -1
	v_add_co_u32_e32 v6, vcc, s6, v6
	s_addc_u32 s17, s17, -1
	s_cmp_eq_u64 s[16:17], 0
	v_addc_co_u32_e32 v7, vcc, v7, v11, vcc
	s_waitcnt vmcnt(0) lgkmcnt(0)
	v_fma_f64 v[2:3], v[12:13], v[14:15], v[2:3]
	s_cbranch_scc0 .LBB52_3
	s_branch .LBB52_5
.LBB52_4:
	v_mov_b32_e32 v2, 0
	v_mov_b32_e32 v3, 0
.LBB52_5:
	s_waitcnt lgkmcnt(0)
	s_mul_i32 s3, s3, s8
	s_mul_hi_u32 s9, s2, s8
	s_add_i32 s3, s9, s3
	s_mul_i32 s2, s2, s8
	v_mul_lo_u32 v6, v5, s26
	v_mul_lo_u32 v7, v4, s27
	v_mad_u64_u32 v[4:5], s[8:9], v4, s26, 0
	s_lshl_b64 s[2:3], s[2:3], 3
	v_mul_lo_u32 v8, v1, s0
	v_mul_lo_u32 v9, v0, s1
	v_mad_u64_u32 v[0:1], s[0:1], v0, s0, 0
	s_add_u32 s10, s22, s2
	s_addc_u32 s11, s23, s3
	s_lshl_b64 s[2:3], s[24:25], 3
	v_add3_u32 v5, v5, v7, v6
	s_add_u32 s0, s10, s2
	v_lshlrev_b64 v[4:5], 3, v[4:5]
	s_addc_u32 s1, s11, s3
	v_add3_u32 v1, v1, v9, v8
	v_mov_b32_e32 v6, s1
	v_add_co_u32_e32 v4, vcc, s0, v4
	v_lshlrev_b64 v[0:1], 3, v[0:1]
	v_addc_co_u32_e32 v5, vcc, v6, v5, vcc
	v_add_co_u32_e32 v0, vcc, v4, v0
	v_addc_co_u32_e32 v1, vcc, v5, v1, vcc
	s_load_dwordx2 s[4:5], s[18:19], 0x0
	s_load_dwordx2 s[6:7], s[20:21], 0x0
	global_load_dwordx2 v[4:5], v[0:1], off
	s_waitcnt vmcnt(0) lgkmcnt(0)
	v_mul_f64 v[4:5], s[6:7], v[4:5]
	v_fma_f64 v[2:3], s[4:5], v[2:3], v[4:5]
	global_store_dwordx2 v[0:1], v[2:3], off
.LBB52_6:
	s_endpgm
	.section	.rodata,"a",@progbits
	.p2align	6, 0x0
	.amdhsa_kernel _ZN9rocsolver6v33100L11gemm_kernelIdlPKdPKPdS6_S4_EEvT0_S7_S7_T1_bT2_lS7_S7_lbT3_lS7_S7_lS8_T4_lS7_S7_l
		.amdhsa_group_segment_fixed_size 0
		.amdhsa_private_segment_fixed_size 0
		.amdhsa_kernarg_size 432
		.amdhsa_user_sgpr_count 6
		.amdhsa_user_sgpr_private_segment_buffer 1
		.amdhsa_user_sgpr_dispatch_ptr 0
		.amdhsa_user_sgpr_queue_ptr 0
		.amdhsa_user_sgpr_kernarg_segment_ptr 1
		.amdhsa_user_sgpr_dispatch_id 0
		.amdhsa_user_sgpr_flat_scratch_init 0
		.amdhsa_user_sgpr_private_segment_size 0
		.amdhsa_uses_dynamic_stack 0
		.amdhsa_system_sgpr_private_segment_wavefront_offset 0
		.amdhsa_system_sgpr_workgroup_id_x 1
		.amdhsa_system_sgpr_workgroup_id_y 1
		.amdhsa_system_sgpr_workgroup_id_z 1
		.amdhsa_system_sgpr_workgroup_info 0
		.amdhsa_system_vgpr_workitem_id 1
		.amdhsa_next_free_vgpr 16
		.amdhsa_next_free_sgpr 52
		.amdhsa_reserve_vcc 1
		.amdhsa_reserve_flat_scratch 0
		.amdhsa_float_round_mode_32 0
		.amdhsa_float_round_mode_16_64 0
		.amdhsa_float_denorm_mode_32 3
		.amdhsa_float_denorm_mode_16_64 3
		.amdhsa_dx10_clamp 1
		.amdhsa_ieee_mode 1
		.amdhsa_fp16_overflow 0
		.amdhsa_exception_fp_ieee_invalid_op 0
		.amdhsa_exception_fp_denorm_src 0
		.amdhsa_exception_fp_ieee_div_zero 0
		.amdhsa_exception_fp_ieee_overflow 0
		.amdhsa_exception_fp_ieee_underflow 0
		.amdhsa_exception_fp_ieee_inexact 0
		.amdhsa_exception_int_div_zero 0
	.end_amdhsa_kernel
	.section	.text._ZN9rocsolver6v33100L11gemm_kernelIdlPKdPKPdS6_S4_EEvT0_S7_S7_T1_bT2_lS7_S7_lbT3_lS7_S7_lS8_T4_lS7_S7_l,"axG",@progbits,_ZN9rocsolver6v33100L11gemm_kernelIdlPKdPKPdS6_S4_EEvT0_S7_S7_T1_bT2_lS7_S7_lbT3_lS7_S7_lS8_T4_lS7_S7_l,comdat
.Lfunc_end52:
	.size	_ZN9rocsolver6v33100L11gemm_kernelIdlPKdPKPdS6_S4_EEvT0_S7_S7_T1_bT2_lS7_S7_lbT3_lS7_S7_lS8_T4_lS7_S7_l, .Lfunc_end52-_ZN9rocsolver6v33100L11gemm_kernelIdlPKdPKPdS6_S4_EEvT0_S7_S7_T1_bT2_lS7_S7_lbT3_lS7_S7_lS8_T4_lS7_S7_l
                                        ; -- End function
	.set _ZN9rocsolver6v33100L11gemm_kernelIdlPKdPKPdS6_S4_EEvT0_S7_S7_T1_bT2_lS7_S7_lbT3_lS7_S7_lS8_T4_lS7_S7_l.num_vgpr, 16
	.set _ZN9rocsolver6v33100L11gemm_kernelIdlPKdPKPdS6_S4_EEvT0_S7_S7_T1_bT2_lS7_S7_lbT3_lS7_S7_lS8_T4_lS7_S7_l.num_agpr, 0
	.set _ZN9rocsolver6v33100L11gemm_kernelIdlPKdPKPdS6_S4_EEvT0_S7_S7_T1_bT2_lS7_S7_lbT3_lS7_S7_lS8_T4_lS7_S7_l.numbered_sgpr, 52
	.set _ZN9rocsolver6v33100L11gemm_kernelIdlPKdPKPdS6_S4_EEvT0_S7_S7_T1_bT2_lS7_S7_lbT3_lS7_S7_lS8_T4_lS7_S7_l.num_named_barrier, 0
	.set _ZN9rocsolver6v33100L11gemm_kernelIdlPKdPKPdS6_S4_EEvT0_S7_S7_T1_bT2_lS7_S7_lbT3_lS7_S7_lS8_T4_lS7_S7_l.private_seg_size, 0
	.set _ZN9rocsolver6v33100L11gemm_kernelIdlPKdPKPdS6_S4_EEvT0_S7_S7_T1_bT2_lS7_S7_lbT3_lS7_S7_lS8_T4_lS7_S7_l.uses_vcc, 1
	.set _ZN9rocsolver6v33100L11gemm_kernelIdlPKdPKPdS6_S4_EEvT0_S7_S7_T1_bT2_lS7_S7_lbT3_lS7_S7_lS8_T4_lS7_S7_l.uses_flat_scratch, 0
	.set _ZN9rocsolver6v33100L11gemm_kernelIdlPKdPKPdS6_S4_EEvT0_S7_S7_T1_bT2_lS7_S7_lbT3_lS7_S7_lS8_T4_lS7_S7_l.has_dyn_sized_stack, 0
	.set _ZN9rocsolver6v33100L11gemm_kernelIdlPKdPKPdS6_S4_EEvT0_S7_S7_T1_bT2_lS7_S7_lbT3_lS7_S7_lS8_T4_lS7_S7_l.has_recursion, 0
	.set _ZN9rocsolver6v33100L11gemm_kernelIdlPKdPKPdS6_S4_EEvT0_S7_S7_T1_bT2_lS7_S7_lbT3_lS7_S7_lS8_T4_lS7_S7_l.has_indirect_call, 0
	.section	.AMDGPU.csdata,"",@progbits
; Kernel info:
; codeLenInByte = 612
; TotalNumSgprs: 56
; NumVgprs: 16
; ScratchSize: 0
; MemoryBound: 0
; FloatMode: 240
; IeeeMode: 1
; LDSByteSize: 0 bytes/workgroup (compile time only)
; SGPRBlocks: 6
; VGPRBlocks: 3
; NumSGPRsForWavesPerEU: 56
; NumVGPRsForWavesPerEU: 16
; Occupancy: 10
; WaveLimiterHint : 0
; COMPUTE_PGM_RSRC2:SCRATCH_EN: 0
; COMPUTE_PGM_RSRC2:USER_SGPR: 6
; COMPUTE_PGM_RSRC2:TRAP_HANDLER: 0
; COMPUTE_PGM_RSRC2:TGID_X_EN: 1
; COMPUTE_PGM_RSRC2:TGID_Y_EN: 1
; COMPUTE_PGM_RSRC2:TGID_Z_EN: 1
; COMPUTE_PGM_RSRC2:TIDIG_COMP_CNT: 1
	.section	.text._ZN9rocsolver6v33100L11gemm_kernelIdldPKPdS4_S2_EEvT0_S5_S5_T1_bT2_lS5_S5_lbT3_lS5_S5_lS6_T4_lS5_S5_l,"axG",@progbits,_ZN9rocsolver6v33100L11gemm_kernelIdldPKPdS4_S2_EEvT0_S5_S5_T1_bT2_lS5_S5_lbT3_lS5_S5_lS6_T4_lS5_S5_l,comdat
	.globl	_ZN9rocsolver6v33100L11gemm_kernelIdldPKPdS4_S2_EEvT0_S5_S5_T1_bT2_lS5_S5_lbT3_lS5_S5_lS6_T4_lS5_S5_l ; -- Begin function _ZN9rocsolver6v33100L11gemm_kernelIdldPKPdS4_S2_EEvT0_S5_S5_T1_bT2_lS5_S5_lbT3_lS5_S5_lS6_T4_lS5_S5_l
	.p2align	8
	.type	_ZN9rocsolver6v33100L11gemm_kernelIdldPKPdS4_S2_EEvT0_S5_S5_T1_bT2_lS5_S5_lbT3_lS5_S5_lS6_T4_lS5_S5_l,@function
_ZN9rocsolver6v33100L11gemm_kernelIdldPKPdS4_S2_EEvT0_S5_S5_T1_bT2_lS5_S5_lbT3_lS5_S5_lS6_T4_lS5_S5_l: ; @_ZN9rocsolver6v33100L11gemm_kernelIdldPKPdS4_S2_EEvT0_S5_S5_T1_bT2_lS5_S5_lbT3_lS5_S5_lS6_T4_lS5_S5_l
; %bb.0:
	s_load_dword s0, s[4:5], 0xbc
	s_load_dwordx8 s[12:19], s[4:5], 0x0
	v_mov_b32_e32 v2, v0
	v_mov_b32_e32 v3, 0
	v_mov_b32_e32 v0, s6
	s_waitcnt lgkmcnt(0)
	s_lshr_b32 s2, s0, 16
	s_and_b32 s0, s0, 0xffff
	v_mad_u64_u32 v[4:5], s[0:1], s0, v0, v[2:3]
	v_mov_b32_e32 v2, v3
	v_mov_b32_e32 v0, s7
	v_mad_u64_u32 v[0:1], s[0:1], s2, v0, v[1:2]
	v_cmp_gt_i64_e32 vcc, s[12:13], v[4:5]
	v_cmp_gt_i64_e64 s[0:1], s[14:15], v[0:1]
	s_and_b64 s[0:1], vcc, s[0:1]
	s_and_saveexec_b64 s[2:3], s[0:1]
	s_cbranch_execz .LBB53_6
; %bb.1:
	v_cmp_lt_i64_e64 s[0:1], s[16:17], 1
	s_mov_b32 s9, 0
	s_and_b64 vcc, exec, s[0:1]
	s_cbranch_vccnz .LBB53_4
; %bb.2:
	s_load_dwordx8 s[20:27], s[4:5], 0x28
	s_load_dwordx8 s[36:43], s[4:5], 0x58
	s_lshl_b64 s[0:1], s[8:9], 3
	s_waitcnt lgkmcnt(0)
	s_add_u32 s2, s20, s0
	s_addc_u32 s3, s21, s1
	s_load_dwordx2 s[2:3], s[2:3], 0x0
	s_add_u32 s0, s36, s0
	s_addc_u32 s1, s37, s1
	s_load_dwordx2 s[0:1], s[0:1], 0x0
	s_lshl_b64 s[6:7], s[22:23], 3
	s_waitcnt lgkmcnt(0)
	s_add_u32 s6, s2, s6
	v_mul_lo_u32 v6, v5, s24
	v_mul_lo_u32 v7, v4, s25
	s_addc_u32 s7, s3, s7
	v_mad_u64_u32 v[2:3], s[2:3], v4, s24, 0
	s_lshl_b64 s[2:3], s[38:39], 3
	s_add_u32 s2, s0, s2
	s_addc_u32 s3, s1, s3
	v_mul_lo_u32 v10, v1, s42
	v_mul_lo_u32 v11, v0, s43
	v_mad_u64_u32 v[8:9], s[0:1], v0, s42, 0
	v_add3_u32 v3, v3, v7, v6
	v_lshlrev_b64 v[2:3], 3, v[2:3]
	v_mov_b32_e32 v7, s7
	v_add_co_u32_e32 v6, vcc, s6, v2
	v_add3_u32 v9, v9, v11, v10
	v_addc_co_u32_e32 v7, vcc, v7, v3, vcc
	v_lshlrev_b64 v[2:3], 3, v[8:9]
	v_mov_b32_e32 v9, s3
	v_add_co_u32_e32 v8, vcc, s2, v2
	v_addc_co_u32_e32 v9, vcc, v9, v3, vcc
	s_lshl_b64 s[0:1], s[40:41], 3
	s_lshl_b64 s[2:3], s[26:27], 3
	v_mov_b32_e32 v2, 0
	v_mov_b32_e32 v3, 0
	;; [unrolled: 1-line block ×4, first 2 shown]
.LBB53_3:                               ; =>This Inner Loop Header: Depth=1
	flat_load_dwordx2 v[12:13], v[6:7]
	flat_load_dwordx2 v[14:15], v[8:9]
	v_add_co_u32_e32 v8, vcc, s0, v8
	v_addc_co_u32_e32 v9, vcc, v9, v10, vcc
	s_add_u32 s16, s16, -1
	v_add_co_u32_e32 v6, vcc, s2, v6
	s_addc_u32 s17, s17, -1
	s_cmp_eq_u64 s[16:17], 0
	v_addc_co_u32_e32 v7, vcc, v7, v11, vcc
	s_waitcnt vmcnt(0) lgkmcnt(0)
	v_fma_f64 v[2:3], v[12:13], v[14:15], v[2:3]
	s_cbranch_scc0 .LBB53_3
	s_branch .LBB53_5
.LBB53_4:
	v_mov_b32_e32 v2, 0
	v_mov_b32_e32 v3, 0
.LBB53_5:
	s_load_dwordx4 s[0:3], s[4:5], 0xa0
	s_load_dwordx8 s[20:27], s[4:5], 0x80
	s_waitcnt lgkmcnt(0)
	s_mul_i32 s3, s3, s8
	s_mul_hi_u32 s4, s2, s8
	s_add_i32 s3, s4, s3
	v_mul_lo_u32 v6, v5, s26
	v_mul_lo_u32 v7, v4, s27
	v_mad_u64_u32 v[4:5], s[4:5], v4, s26, 0
	s_mul_i32 s2, s2, s8
	s_lshl_b64 s[2:3], s[2:3], 3
	v_mul_lo_u32 v8, v1, s0
	v_mul_lo_u32 v9, v0, s1
	v_mad_u64_u32 v[0:1], s[0:1], v0, s0, 0
	s_add_u32 s6, s22, s2
	s_addc_u32 s7, s23, s3
	s_lshl_b64 s[2:3], s[24:25], 3
	v_add3_u32 v5, v5, v7, v6
	s_add_u32 s0, s6, s2
	v_lshlrev_b64 v[4:5], 3, v[4:5]
	s_addc_u32 s1, s7, s3
	v_add3_u32 v1, v1, v9, v8
	v_mov_b32_e32 v6, s1
	v_add_co_u32_e32 v4, vcc, s0, v4
	v_lshlrev_b64 v[0:1], 3, v[0:1]
	v_addc_co_u32_e32 v5, vcc, v6, v5, vcc
	v_add_co_u32_e32 v0, vcc, v4, v0
	v_addc_co_u32_e32 v1, vcc, v5, v1, vcc
	global_load_dwordx2 v[4:5], v[0:1], off
	s_waitcnt vmcnt(0)
	v_mul_f64 v[4:5], s[20:21], v[4:5]
	v_fma_f64 v[2:3], s[18:19], v[2:3], v[4:5]
	global_store_dwordx2 v[0:1], v[2:3], off
.LBB53_6:
	s_endpgm
	.section	.rodata,"a",@progbits
	.p2align	6, 0x0
	.amdhsa_kernel _ZN9rocsolver6v33100L11gemm_kernelIdldPKPdS4_S2_EEvT0_S5_S5_T1_bT2_lS5_S5_lbT3_lS5_S5_lS6_T4_lS5_S5_l
		.amdhsa_group_segment_fixed_size 0
		.amdhsa_private_segment_fixed_size 0
		.amdhsa_kernarg_size 432
		.amdhsa_user_sgpr_count 6
		.amdhsa_user_sgpr_private_segment_buffer 1
		.amdhsa_user_sgpr_dispatch_ptr 0
		.amdhsa_user_sgpr_queue_ptr 0
		.amdhsa_user_sgpr_kernarg_segment_ptr 1
		.amdhsa_user_sgpr_dispatch_id 0
		.amdhsa_user_sgpr_flat_scratch_init 0
		.amdhsa_user_sgpr_private_segment_size 0
		.amdhsa_uses_dynamic_stack 0
		.amdhsa_system_sgpr_private_segment_wavefront_offset 0
		.amdhsa_system_sgpr_workgroup_id_x 1
		.amdhsa_system_sgpr_workgroup_id_y 1
		.amdhsa_system_sgpr_workgroup_id_z 1
		.amdhsa_system_sgpr_workgroup_info 0
		.amdhsa_system_vgpr_workitem_id 1
		.amdhsa_next_free_vgpr 16
		.amdhsa_next_free_sgpr 44
		.amdhsa_reserve_vcc 1
		.amdhsa_reserve_flat_scratch 0
		.amdhsa_float_round_mode_32 0
		.amdhsa_float_round_mode_16_64 0
		.amdhsa_float_denorm_mode_32 3
		.amdhsa_float_denorm_mode_16_64 3
		.amdhsa_dx10_clamp 1
		.amdhsa_ieee_mode 1
		.amdhsa_fp16_overflow 0
		.amdhsa_exception_fp_ieee_invalid_op 0
		.amdhsa_exception_fp_denorm_src 0
		.amdhsa_exception_fp_ieee_div_zero 0
		.amdhsa_exception_fp_ieee_overflow 0
		.amdhsa_exception_fp_ieee_underflow 0
		.amdhsa_exception_fp_ieee_inexact 0
		.amdhsa_exception_int_div_zero 0
	.end_amdhsa_kernel
	.section	.text._ZN9rocsolver6v33100L11gemm_kernelIdldPKPdS4_S2_EEvT0_S5_S5_T1_bT2_lS5_S5_lbT3_lS5_S5_lS6_T4_lS5_S5_l,"axG",@progbits,_ZN9rocsolver6v33100L11gemm_kernelIdldPKPdS4_S2_EEvT0_S5_S5_T1_bT2_lS5_S5_lbT3_lS5_S5_lS6_T4_lS5_S5_l,comdat
.Lfunc_end53:
	.size	_ZN9rocsolver6v33100L11gemm_kernelIdldPKPdS4_S2_EEvT0_S5_S5_T1_bT2_lS5_S5_lbT3_lS5_S5_lS6_T4_lS5_S5_l, .Lfunc_end53-_ZN9rocsolver6v33100L11gemm_kernelIdldPKPdS4_S2_EEvT0_S5_S5_T1_bT2_lS5_S5_lbT3_lS5_S5_lS6_T4_lS5_S5_l
                                        ; -- End function
	.set _ZN9rocsolver6v33100L11gemm_kernelIdldPKPdS4_S2_EEvT0_S5_S5_T1_bT2_lS5_S5_lbT3_lS5_S5_lS6_T4_lS5_S5_l.num_vgpr, 16
	.set _ZN9rocsolver6v33100L11gemm_kernelIdldPKPdS4_S2_EEvT0_S5_S5_T1_bT2_lS5_S5_lbT3_lS5_S5_lS6_T4_lS5_S5_l.num_agpr, 0
	.set _ZN9rocsolver6v33100L11gemm_kernelIdldPKPdS4_S2_EEvT0_S5_S5_T1_bT2_lS5_S5_lbT3_lS5_S5_lS6_T4_lS5_S5_l.numbered_sgpr, 44
	.set _ZN9rocsolver6v33100L11gemm_kernelIdldPKPdS4_S2_EEvT0_S5_S5_T1_bT2_lS5_S5_lbT3_lS5_S5_lS6_T4_lS5_S5_l.num_named_barrier, 0
	.set _ZN9rocsolver6v33100L11gemm_kernelIdldPKPdS4_S2_EEvT0_S5_S5_T1_bT2_lS5_S5_lbT3_lS5_S5_lS6_T4_lS5_S5_l.private_seg_size, 0
	.set _ZN9rocsolver6v33100L11gemm_kernelIdldPKPdS4_S2_EEvT0_S5_S5_T1_bT2_lS5_S5_lbT3_lS5_S5_lS6_T4_lS5_S5_l.uses_vcc, 1
	.set _ZN9rocsolver6v33100L11gemm_kernelIdldPKPdS4_S2_EEvT0_S5_S5_T1_bT2_lS5_S5_lbT3_lS5_S5_lS6_T4_lS5_S5_l.uses_flat_scratch, 0
	.set _ZN9rocsolver6v33100L11gemm_kernelIdldPKPdS4_S2_EEvT0_S5_S5_T1_bT2_lS5_S5_lbT3_lS5_S5_lS6_T4_lS5_S5_l.has_dyn_sized_stack, 0
	.set _ZN9rocsolver6v33100L11gemm_kernelIdldPKPdS4_S2_EEvT0_S5_S5_T1_bT2_lS5_S5_lbT3_lS5_S5_lS6_T4_lS5_S5_l.has_recursion, 0
	.set _ZN9rocsolver6v33100L11gemm_kernelIdldPKPdS4_S2_EEvT0_S5_S5_T1_bT2_lS5_S5_lbT3_lS5_S5_lS6_T4_lS5_S5_l.has_indirect_call, 0
	.section	.AMDGPU.csdata,"",@progbits
; Kernel info:
; codeLenInByte = 596
; TotalNumSgprs: 48
; NumVgprs: 16
; ScratchSize: 0
; MemoryBound: 0
; FloatMode: 240
; IeeeMode: 1
; LDSByteSize: 0 bytes/workgroup (compile time only)
; SGPRBlocks: 5
; VGPRBlocks: 3
; NumSGPRsForWavesPerEU: 48
; NumVGPRsForWavesPerEU: 16
; Occupancy: 10
; WaveLimiterHint : 0
; COMPUTE_PGM_RSRC2:SCRATCH_EN: 0
; COMPUTE_PGM_RSRC2:USER_SGPR: 6
; COMPUTE_PGM_RSRC2:TRAP_HANDLER: 0
; COMPUTE_PGM_RSRC2:TGID_X_EN: 1
; COMPUTE_PGM_RSRC2:TGID_Y_EN: 1
; COMPUTE_PGM_RSRC2:TGID_Z_EN: 1
; COMPUTE_PGM_RSRC2:TIDIG_COMP_CNT: 1
	.section	.text._ZN9rocsolver6v33100L16mfma_gemm_kernelIdlPKdPKPdS4_S4_EEv18rocblas_operation_S7_T0_S8_S8_T1_T2_lS8_S8_lT3_lS8_S8_lS9_T4_lS8_S8_l,"axG",@progbits,_ZN9rocsolver6v33100L16mfma_gemm_kernelIdlPKdPKPdS4_S4_EEv18rocblas_operation_S7_T0_S8_S8_T1_T2_lS8_S8_lT3_lS8_S8_lS9_T4_lS8_S8_l,comdat
	.globl	_ZN9rocsolver6v33100L16mfma_gemm_kernelIdlPKdPKPdS4_S4_EEv18rocblas_operation_S7_T0_S8_S8_T1_T2_lS8_S8_lT3_lS8_S8_lS9_T4_lS8_S8_l ; -- Begin function _ZN9rocsolver6v33100L16mfma_gemm_kernelIdlPKdPKPdS4_S4_EEv18rocblas_operation_S7_T0_S8_S8_T1_T2_lS8_S8_lT3_lS8_S8_lS9_T4_lS8_S8_l
	.p2align	8
	.type	_ZN9rocsolver6v33100L16mfma_gemm_kernelIdlPKdPKPdS4_S4_EEv18rocblas_operation_S7_T0_S8_S8_T1_T2_lS8_S8_lT3_lS8_S8_lS9_T4_lS8_S8_l,@function
_ZN9rocsolver6v33100L16mfma_gemm_kernelIdlPKdPKPdS4_S4_EEv18rocblas_operation_S7_T0_S8_S8_T1_T2_lS8_S8_lT3_lS8_S8_lS9_T4_lS8_S8_l: ; @_ZN9rocsolver6v33100L16mfma_gemm_kernelIdlPKdPKPdS4_S4_EEv18rocblas_operation_S7_T0_S8_S8_T1_T2_lS8_S8_lT3_lS8_S8_lS9_T4_lS8_S8_l
; %bb.0:
	s_endpgm
	.section	.rodata,"a",@progbits
	.p2align	6, 0x0
	.amdhsa_kernel _ZN9rocsolver6v33100L16mfma_gemm_kernelIdlPKdPKPdS4_S4_EEv18rocblas_operation_S7_T0_S8_S8_T1_T2_lS8_S8_lT3_lS8_S8_lS9_T4_lS8_S8_l
		.amdhsa_group_segment_fixed_size 0
		.amdhsa_private_segment_fixed_size 0
		.amdhsa_kernarg_size 168
		.amdhsa_user_sgpr_count 6
		.amdhsa_user_sgpr_private_segment_buffer 1
		.amdhsa_user_sgpr_dispatch_ptr 0
		.amdhsa_user_sgpr_queue_ptr 0
		.amdhsa_user_sgpr_kernarg_segment_ptr 1
		.amdhsa_user_sgpr_dispatch_id 0
		.amdhsa_user_sgpr_flat_scratch_init 0
		.amdhsa_user_sgpr_private_segment_size 0
		.amdhsa_uses_dynamic_stack 0
		.amdhsa_system_sgpr_private_segment_wavefront_offset 0
		.amdhsa_system_sgpr_workgroup_id_x 1
		.amdhsa_system_sgpr_workgroup_id_y 0
		.amdhsa_system_sgpr_workgroup_id_z 0
		.amdhsa_system_sgpr_workgroup_info 0
		.amdhsa_system_vgpr_workitem_id 0
		.amdhsa_next_free_vgpr 1
		.amdhsa_next_free_sgpr 0
		.amdhsa_reserve_vcc 0
		.amdhsa_reserve_flat_scratch 0
		.amdhsa_float_round_mode_32 0
		.amdhsa_float_round_mode_16_64 0
		.amdhsa_float_denorm_mode_32 3
		.amdhsa_float_denorm_mode_16_64 3
		.amdhsa_dx10_clamp 1
		.amdhsa_ieee_mode 1
		.amdhsa_fp16_overflow 0
		.amdhsa_exception_fp_ieee_invalid_op 0
		.amdhsa_exception_fp_denorm_src 0
		.amdhsa_exception_fp_ieee_div_zero 0
		.amdhsa_exception_fp_ieee_overflow 0
		.amdhsa_exception_fp_ieee_underflow 0
		.amdhsa_exception_fp_ieee_inexact 0
		.amdhsa_exception_int_div_zero 0
	.end_amdhsa_kernel
	.section	.text._ZN9rocsolver6v33100L16mfma_gemm_kernelIdlPKdPKPdS4_S4_EEv18rocblas_operation_S7_T0_S8_S8_T1_T2_lS8_S8_lT3_lS8_S8_lS9_T4_lS8_S8_l,"axG",@progbits,_ZN9rocsolver6v33100L16mfma_gemm_kernelIdlPKdPKPdS4_S4_EEv18rocblas_operation_S7_T0_S8_S8_T1_T2_lS8_S8_lT3_lS8_S8_lS9_T4_lS8_S8_l,comdat
.Lfunc_end54:
	.size	_ZN9rocsolver6v33100L16mfma_gemm_kernelIdlPKdPKPdS4_S4_EEv18rocblas_operation_S7_T0_S8_S8_T1_T2_lS8_S8_lT3_lS8_S8_lS9_T4_lS8_S8_l, .Lfunc_end54-_ZN9rocsolver6v33100L16mfma_gemm_kernelIdlPKdPKPdS4_S4_EEv18rocblas_operation_S7_T0_S8_S8_T1_T2_lS8_S8_lT3_lS8_S8_lS9_T4_lS8_S8_l
                                        ; -- End function
	.set _ZN9rocsolver6v33100L16mfma_gemm_kernelIdlPKdPKPdS4_S4_EEv18rocblas_operation_S7_T0_S8_S8_T1_T2_lS8_S8_lT3_lS8_S8_lS9_T4_lS8_S8_l.num_vgpr, 0
	.set _ZN9rocsolver6v33100L16mfma_gemm_kernelIdlPKdPKPdS4_S4_EEv18rocblas_operation_S7_T0_S8_S8_T1_T2_lS8_S8_lT3_lS8_S8_lS9_T4_lS8_S8_l.num_agpr, 0
	.set _ZN9rocsolver6v33100L16mfma_gemm_kernelIdlPKdPKPdS4_S4_EEv18rocblas_operation_S7_T0_S8_S8_T1_T2_lS8_S8_lT3_lS8_S8_lS9_T4_lS8_S8_l.numbered_sgpr, 0
	.set _ZN9rocsolver6v33100L16mfma_gemm_kernelIdlPKdPKPdS4_S4_EEv18rocblas_operation_S7_T0_S8_S8_T1_T2_lS8_S8_lT3_lS8_S8_lS9_T4_lS8_S8_l.num_named_barrier, 0
	.set _ZN9rocsolver6v33100L16mfma_gemm_kernelIdlPKdPKPdS4_S4_EEv18rocblas_operation_S7_T0_S8_S8_T1_T2_lS8_S8_lT3_lS8_S8_lS9_T4_lS8_S8_l.private_seg_size, 0
	.set _ZN9rocsolver6v33100L16mfma_gemm_kernelIdlPKdPKPdS4_S4_EEv18rocblas_operation_S7_T0_S8_S8_T1_T2_lS8_S8_lT3_lS8_S8_lS9_T4_lS8_S8_l.uses_vcc, 0
	.set _ZN9rocsolver6v33100L16mfma_gemm_kernelIdlPKdPKPdS4_S4_EEv18rocblas_operation_S7_T0_S8_S8_T1_T2_lS8_S8_lT3_lS8_S8_lS9_T4_lS8_S8_l.uses_flat_scratch, 0
	.set _ZN9rocsolver6v33100L16mfma_gemm_kernelIdlPKdPKPdS4_S4_EEv18rocblas_operation_S7_T0_S8_S8_T1_T2_lS8_S8_lT3_lS8_S8_lS9_T4_lS8_S8_l.has_dyn_sized_stack, 0
	.set _ZN9rocsolver6v33100L16mfma_gemm_kernelIdlPKdPKPdS4_S4_EEv18rocblas_operation_S7_T0_S8_S8_T1_T2_lS8_S8_lT3_lS8_S8_lS9_T4_lS8_S8_l.has_recursion, 0
	.set _ZN9rocsolver6v33100L16mfma_gemm_kernelIdlPKdPKPdS4_S4_EEv18rocblas_operation_S7_T0_S8_S8_T1_T2_lS8_S8_lT3_lS8_S8_lS9_T4_lS8_S8_l.has_indirect_call, 0
	.section	.AMDGPU.csdata,"",@progbits
; Kernel info:
; codeLenInByte = 4
; TotalNumSgprs: 4
; NumVgprs: 0
; ScratchSize: 0
; MemoryBound: 0
; FloatMode: 240
; IeeeMode: 1
; LDSByteSize: 0 bytes/workgroup (compile time only)
; SGPRBlocks: 0
; VGPRBlocks: 0
; NumSGPRsForWavesPerEU: 4
; NumVGPRsForWavesPerEU: 1
; Occupancy: 10
; WaveLimiterHint : 0
; COMPUTE_PGM_RSRC2:SCRATCH_EN: 0
; COMPUTE_PGM_RSRC2:USER_SGPR: 6
; COMPUTE_PGM_RSRC2:TRAP_HANDLER: 0
; COMPUTE_PGM_RSRC2:TGID_X_EN: 1
; COMPUTE_PGM_RSRC2:TGID_Y_EN: 0
; COMPUTE_PGM_RSRC2:TGID_Z_EN: 0
; COMPUTE_PGM_RSRC2:TIDIG_COMP_CNT: 0
	.section	.text._ZN9rocsolver6v33100L16mfma_gemm_kernelIdldPKPdS2_S2_EEv18rocblas_operation_S5_T0_S6_S6_T1_T2_lS6_S6_lT3_lS6_S6_lS7_T4_lS6_S6_l,"axG",@progbits,_ZN9rocsolver6v33100L16mfma_gemm_kernelIdldPKPdS2_S2_EEv18rocblas_operation_S5_T0_S6_S6_T1_T2_lS6_S6_lT3_lS6_S6_lS7_T4_lS6_S6_l,comdat
	.globl	_ZN9rocsolver6v33100L16mfma_gemm_kernelIdldPKPdS2_S2_EEv18rocblas_operation_S5_T0_S6_S6_T1_T2_lS6_S6_lT3_lS6_S6_lS7_T4_lS6_S6_l ; -- Begin function _ZN9rocsolver6v33100L16mfma_gemm_kernelIdldPKPdS2_S2_EEv18rocblas_operation_S5_T0_S6_S6_T1_T2_lS6_S6_lT3_lS6_S6_lS7_T4_lS6_S6_l
	.p2align	8
	.type	_ZN9rocsolver6v33100L16mfma_gemm_kernelIdldPKPdS2_S2_EEv18rocblas_operation_S5_T0_S6_S6_T1_T2_lS6_S6_lT3_lS6_S6_lS7_T4_lS6_S6_l,@function
_ZN9rocsolver6v33100L16mfma_gemm_kernelIdldPKPdS2_S2_EEv18rocblas_operation_S5_T0_S6_S6_T1_T2_lS6_S6_lT3_lS6_S6_lS7_T4_lS6_S6_l: ; @_ZN9rocsolver6v33100L16mfma_gemm_kernelIdldPKPdS2_S2_EEv18rocblas_operation_S5_T0_S6_S6_T1_T2_lS6_S6_lT3_lS6_S6_lS7_T4_lS6_S6_l
; %bb.0:
	s_endpgm
	.section	.rodata,"a",@progbits
	.p2align	6, 0x0
	.amdhsa_kernel _ZN9rocsolver6v33100L16mfma_gemm_kernelIdldPKPdS2_S2_EEv18rocblas_operation_S5_T0_S6_S6_T1_T2_lS6_S6_lT3_lS6_S6_lS7_T4_lS6_S6_l
		.amdhsa_group_segment_fixed_size 0
		.amdhsa_private_segment_fixed_size 0
		.amdhsa_kernarg_size 168
		.amdhsa_user_sgpr_count 6
		.amdhsa_user_sgpr_private_segment_buffer 1
		.amdhsa_user_sgpr_dispatch_ptr 0
		.amdhsa_user_sgpr_queue_ptr 0
		.amdhsa_user_sgpr_kernarg_segment_ptr 1
		.amdhsa_user_sgpr_dispatch_id 0
		.amdhsa_user_sgpr_flat_scratch_init 0
		.amdhsa_user_sgpr_private_segment_size 0
		.amdhsa_uses_dynamic_stack 0
		.amdhsa_system_sgpr_private_segment_wavefront_offset 0
		.amdhsa_system_sgpr_workgroup_id_x 1
		.amdhsa_system_sgpr_workgroup_id_y 0
		.amdhsa_system_sgpr_workgroup_id_z 0
		.amdhsa_system_sgpr_workgroup_info 0
		.amdhsa_system_vgpr_workitem_id 0
		.amdhsa_next_free_vgpr 1
		.amdhsa_next_free_sgpr 0
		.amdhsa_reserve_vcc 0
		.amdhsa_reserve_flat_scratch 0
		.amdhsa_float_round_mode_32 0
		.amdhsa_float_round_mode_16_64 0
		.amdhsa_float_denorm_mode_32 3
		.amdhsa_float_denorm_mode_16_64 3
		.amdhsa_dx10_clamp 1
		.amdhsa_ieee_mode 1
		.amdhsa_fp16_overflow 0
		.amdhsa_exception_fp_ieee_invalid_op 0
		.amdhsa_exception_fp_denorm_src 0
		.amdhsa_exception_fp_ieee_div_zero 0
		.amdhsa_exception_fp_ieee_overflow 0
		.amdhsa_exception_fp_ieee_underflow 0
		.amdhsa_exception_fp_ieee_inexact 0
		.amdhsa_exception_int_div_zero 0
	.end_amdhsa_kernel
	.section	.text._ZN9rocsolver6v33100L16mfma_gemm_kernelIdldPKPdS2_S2_EEv18rocblas_operation_S5_T0_S6_S6_T1_T2_lS6_S6_lT3_lS6_S6_lS7_T4_lS6_S6_l,"axG",@progbits,_ZN9rocsolver6v33100L16mfma_gemm_kernelIdldPKPdS2_S2_EEv18rocblas_operation_S5_T0_S6_S6_T1_T2_lS6_S6_lT3_lS6_S6_lS7_T4_lS6_S6_l,comdat
.Lfunc_end55:
	.size	_ZN9rocsolver6v33100L16mfma_gemm_kernelIdldPKPdS2_S2_EEv18rocblas_operation_S5_T0_S6_S6_T1_T2_lS6_S6_lT3_lS6_S6_lS7_T4_lS6_S6_l, .Lfunc_end55-_ZN9rocsolver6v33100L16mfma_gemm_kernelIdldPKPdS2_S2_EEv18rocblas_operation_S5_T0_S6_S6_T1_T2_lS6_S6_lT3_lS6_S6_lS7_T4_lS6_S6_l
                                        ; -- End function
	.set _ZN9rocsolver6v33100L16mfma_gemm_kernelIdldPKPdS2_S2_EEv18rocblas_operation_S5_T0_S6_S6_T1_T2_lS6_S6_lT3_lS6_S6_lS7_T4_lS6_S6_l.num_vgpr, 0
	.set _ZN9rocsolver6v33100L16mfma_gemm_kernelIdldPKPdS2_S2_EEv18rocblas_operation_S5_T0_S6_S6_T1_T2_lS6_S6_lT3_lS6_S6_lS7_T4_lS6_S6_l.num_agpr, 0
	.set _ZN9rocsolver6v33100L16mfma_gemm_kernelIdldPKPdS2_S2_EEv18rocblas_operation_S5_T0_S6_S6_T1_T2_lS6_S6_lT3_lS6_S6_lS7_T4_lS6_S6_l.numbered_sgpr, 0
	.set _ZN9rocsolver6v33100L16mfma_gemm_kernelIdldPKPdS2_S2_EEv18rocblas_operation_S5_T0_S6_S6_T1_T2_lS6_S6_lT3_lS6_S6_lS7_T4_lS6_S6_l.num_named_barrier, 0
	.set _ZN9rocsolver6v33100L16mfma_gemm_kernelIdldPKPdS2_S2_EEv18rocblas_operation_S5_T0_S6_S6_T1_T2_lS6_S6_lT3_lS6_S6_lS7_T4_lS6_S6_l.private_seg_size, 0
	.set _ZN9rocsolver6v33100L16mfma_gemm_kernelIdldPKPdS2_S2_EEv18rocblas_operation_S5_T0_S6_S6_T1_T2_lS6_S6_lT3_lS6_S6_lS7_T4_lS6_S6_l.uses_vcc, 0
	.set _ZN9rocsolver6v33100L16mfma_gemm_kernelIdldPKPdS2_S2_EEv18rocblas_operation_S5_T0_S6_S6_T1_T2_lS6_S6_lT3_lS6_S6_lS7_T4_lS6_S6_l.uses_flat_scratch, 0
	.set _ZN9rocsolver6v33100L16mfma_gemm_kernelIdldPKPdS2_S2_EEv18rocblas_operation_S5_T0_S6_S6_T1_T2_lS6_S6_lT3_lS6_S6_lS7_T4_lS6_S6_l.has_dyn_sized_stack, 0
	.set _ZN9rocsolver6v33100L16mfma_gemm_kernelIdldPKPdS2_S2_EEv18rocblas_operation_S5_T0_S6_S6_T1_T2_lS6_S6_lT3_lS6_S6_lS7_T4_lS6_S6_l.has_recursion, 0
	.set _ZN9rocsolver6v33100L16mfma_gemm_kernelIdldPKPdS2_S2_EEv18rocblas_operation_S5_T0_S6_S6_T1_T2_lS6_S6_lT3_lS6_S6_lS7_T4_lS6_S6_l.has_indirect_call, 0
	.section	.AMDGPU.csdata,"",@progbits
; Kernel info:
; codeLenInByte = 4
; TotalNumSgprs: 4
; NumVgprs: 0
; ScratchSize: 0
; MemoryBound: 0
; FloatMode: 240
; IeeeMode: 1
; LDSByteSize: 0 bytes/workgroup (compile time only)
; SGPRBlocks: 0
; VGPRBlocks: 0
; NumSGPRsForWavesPerEU: 4
; NumVGPRsForWavesPerEU: 1
; Occupancy: 10
; WaveLimiterHint : 0
; COMPUTE_PGM_RSRC2:SCRATCH_EN: 0
; COMPUTE_PGM_RSRC2:USER_SGPR: 6
; COMPUTE_PGM_RSRC2:TRAP_HANDLER: 0
; COMPUTE_PGM_RSRC2:TGID_X_EN: 1
; COMPUTE_PGM_RSRC2:TGID_Y_EN: 0
; COMPUTE_PGM_RSRC2:TGID_Z_EN: 0
; COMPUTE_PGM_RSRC2:TIDIG_COMP_CNT: 0
	.section	.text._ZN9rocsolver6v33100L11gemm_kernelIdlPKdPKPdS4_S4_EEvT0_S7_S7_T1_bT2_lS7_S7_lbT3_lS7_S7_lS8_T4_lS7_S7_l,"axG",@progbits,_ZN9rocsolver6v33100L11gemm_kernelIdlPKdPKPdS4_S4_EEvT0_S7_S7_T1_bT2_lS7_S7_lbT3_lS7_S7_lS8_T4_lS7_S7_l,comdat
	.globl	_ZN9rocsolver6v33100L11gemm_kernelIdlPKdPKPdS4_S4_EEvT0_S7_S7_T1_bT2_lS7_S7_lbT3_lS7_S7_lS8_T4_lS7_S7_l ; -- Begin function _ZN9rocsolver6v33100L11gemm_kernelIdlPKdPKPdS4_S4_EEvT0_S7_S7_T1_bT2_lS7_S7_lbT3_lS7_S7_lS8_T4_lS7_S7_l
	.p2align	8
	.type	_ZN9rocsolver6v33100L11gemm_kernelIdlPKdPKPdS4_S4_EEvT0_S7_S7_T1_bT2_lS7_S7_lbT3_lS7_S7_lS8_T4_lS7_S7_l,@function
_ZN9rocsolver6v33100L11gemm_kernelIdlPKdPKPdS4_S4_EEvT0_S7_S7_T1_bT2_lS7_S7_lbT3_lS7_S7_lS8_T4_lS7_S7_l: ; @_ZN9rocsolver6v33100L11gemm_kernelIdlPKdPKPdS4_S4_EEvT0_S7_S7_T1_bT2_lS7_S7_lbT3_lS7_S7_lS8_T4_lS7_S7_l
; %bb.0:
	s_load_dword s0, s[4:5], 0xbc
	s_load_dwordx8 s[24:31], s[4:5], 0x0
	v_mov_b32_e32 v2, v0
	v_mov_b32_e32 v3, 0
	;; [unrolled: 1-line block ×3, first 2 shown]
	s_waitcnt lgkmcnt(0)
	s_lshr_b32 s2, s0, 16
	s_and_b32 s0, s0, 0xffff
	v_mad_u64_u32 v[4:5], s[0:1], s0, v0, v[2:3]
	v_mov_b32_e32 v2, v3
	v_mov_b32_e32 v0, s7
	v_mad_u64_u32 v[0:1], s[0:1], s2, v0, v[1:2]
	v_cmp_gt_i64_e32 vcc, s[24:25], v[4:5]
	v_cmp_gt_i64_e64 s[0:1], s[26:27], v[0:1]
	s_and_b64 s[0:1], vcc, s[0:1]
	s_and_saveexec_b64 s[2:3], s[0:1]
	s_cbranch_execz .LBB56_6
; %bb.1:
	s_load_dwordx16 s[12:27], s[4:5], 0x58
	v_cmp_lt_i64_e64 s[0:1], s[28:29], 1
	s_mov_b32 s9, 0
	s_and_b64 vcc, exec, s[0:1]
	s_cbranch_vccnz .LBB56_4
; %bb.2:
	s_load_dwordx8 s[36:43], s[4:5], 0x28
	s_lshl_b64 s[0:1], s[8:9], 3
	s_waitcnt lgkmcnt(0)
	s_mul_i32 s3, s21, s8
	s_mul_hi_u32 s9, s20, s8
	s_mul_i32 s2, s20, s8
	s_add_u32 s0, s36, s0
	s_addc_u32 s1, s37, s1
	s_load_dwordx2 s[0:1], s[0:1], 0x0
	s_lshl_b64 s[6:7], s[38:39], 3
	v_mul_lo_u32 v6, v5, s40
	v_mul_lo_u32 v7, v4, s41
	;; [unrolled: 1-line block ×3, first 2 shown]
	s_waitcnt lgkmcnt(0)
	s_add_u32 s6, s0, s6
	s_addc_u32 s7, s1, s7
	s_add_i32 s3, s9, s3
	s_lshl_b64 s[0:1], s[2:3], 3
	s_add_u32 s2, s12, s0
	s_addc_u32 s3, s13, s1
	v_mad_u64_u32 v[2:3], s[0:1], v4, s40, 0
	s_lshl_b64 s[0:1], s[14:15], 3
	s_add_u32 s2, s2, s0
	s_addc_u32 s3, s3, s1
	v_mul_lo_u32 v11, v0, s19
	v_mad_u64_u32 v[8:9], s[0:1], v0, s18, 0
	v_add3_u32 v3, v3, v7, v6
	v_lshlrev_b64 v[2:3], 3, v[2:3]
	v_mov_b32_e32 v7, s7
	v_add_co_u32_e32 v6, vcc, s6, v2
	v_add3_u32 v9, v9, v11, v10
	v_addc_co_u32_e32 v7, vcc, v7, v3, vcc
	v_lshlrev_b64 v[2:3], 3, v[8:9]
	v_mov_b32_e32 v9, s3
	v_add_co_u32_e32 v8, vcc, s2, v2
	v_addc_co_u32_e32 v9, vcc, v9, v3, vcc
	s_lshl_b64 s[0:1], s[16:17], 3
	s_lshl_b64 s[2:3], s[42:43], 3
	v_mov_b32_e32 v2, 0
	v_mov_b32_e32 v3, 0
	;; [unrolled: 1-line block ×4, first 2 shown]
.LBB56_3:                               ; =>This Inner Loop Header: Depth=1
	flat_load_dwordx2 v[12:13], v[6:7]
	global_load_dwordx2 v[14:15], v[8:9], off
	v_add_co_u32_e32 v8, vcc, s0, v8
	v_addc_co_u32_e32 v9, vcc, v9, v10, vcc
	s_add_u32 s28, s28, -1
	v_add_co_u32_e32 v6, vcc, s2, v6
	s_addc_u32 s29, s29, -1
	s_cmp_eq_u64 s[28:29], 0
	v_addc_co_u32_e32 v7, vcc, v7, v11, vcc
	s_waitcnt vmcnt(0) lgkmcnt(0)
	v_fma_f64 v[2:3], v[12:13], v[14:15], v[2:3]
	s_cbranch_scc0 .LBB56_3
	s_branch .LBB56_5
.LBB56_4:
	v_mov_b32_e32 v2, 0
	v_mov_b32_e32 v3, 0
.LBB56_5:
	s_load_dwordx2 s[0:1], s[30:31], 0x0
	s_waitcnt lgkmcnt(0)
	s_load_dwordx2 s[2:3], s[22:23], 0x0
                                        ; kill: killed $sgpr30_sgpr31
                                        ; kill: killed $sgpr22_sgpr23
	s_load_dwordx2 s[6:7], s[4:5], 0xa8
	s_load_dwordx4 s[12:15], s[4:5], 0x98
	s_waitcnt lgkmcnt(0)
	s_mul_i32 s5, s7, s8
	s_mul_hi_u32 s7, s6, s8
	s_mul_i32 s4, s6, s8
	s_add_i32 s5, s7, s5
	v_mul_lo_u32 v6, v5, s12
	v_mul_lo_u32 v7, v4, s13
	v_mad_u64_u32 v[4:5], s[6:7], v4, s12, 0
	s_lshl_b64 s[4:5], s[4:5], 3
	v_mul_lo_u32 v8, v1, s14
	v_mul_lo_u32 v9, v0, s15
	v_mad_u64_u32 v[0:1], s[6:7], v0, s14, 0
	s_add_u32 s8, s24, s4
	s_addc_u32 s9, s25, s5
	s_lshl_b64 s[4:5], s[26:27], 3
	v_add3_u32 v5, v5, v7, v6
	s_add_u32 s4, s8, s4
	v_lshlrev_b64 v[4:5], 3, v[4:5]
	s_addc_u32 s5, s9, s5
	v_add3_u32 v1, v1, v9, v8
	v_mov_b32_e32 v6, s5
	v_add_co_u32_e32 v4, vcc, s4, v4
	v_lshlrev_b64 v[0:1], 3, v[0:1]
	v_addc_co_u32_e32 v5, vcc, v6, v5, vcc
	v_add_co_u32_e32 v0, vcc, v4, v0
	v_addc_co_u32_e32 v1, vcc, v5, v1, vcc
	global_load_dwordx2 v[4:5], v[0:1], off
	s_waitcnt vmcnt(0)
	v_mul_f64 v[4:5], s[2:3], v[4:5]
	v_fma_f64 v[2:3], s[0:1], v[2:3], v[4:5]
	global_store_dwordx2 v[0:1], v[2:3], off
.LBB56_6:
	s_endpgm
	.section	.rodata,"a",@progbits
	.p2align	6, 0x0
	.amdhsa_kernel _ZN9rocsolver6v33100L11gemm_kernelIdlPKdPKPdS4_S4_EEvT0_S7_S7_T1_bT2_lS7_S7_lbT3_lS7_S7_lS8_T4_lS7_S7_l
		.amdhsa_group_segment_fixed_size 0
		.amdhsa_private_segment_fixed_size 0
		.amdhsa_kernarg_size 432
		.amdhsa_user_sgpr_count 6
		.amdhsa_user_sgpr_private_segment_buffer 1
		.amdhsa_user_sgpr_dispatch_ptr 0
		.amdhsa_user_sgpr_queue_ptr 0
		.amdhsa_user_sgpr_kernarg_segment_ptr 1
		.amdhsa_user_sgpr_dispatch_id 0
		.amdhsa_user_sgpr_flat_scratch_init 0
		.amdhsa_user_sgpr_private_segment_size 0
		.amdhsa_uses_dynamic_stack 0
		.amdhsa_system_sgpr_private_segment_wavefront_offset 0
		.amdhsa_system_sgpr_workgroup_id_x 1
		.amdhsa_system_sgpr_workgroup_id_y 1
		.amdhsa_system_sgpr_workgroup_id_z 1
		.amdhsa_system_sgpr_workgroup_info 0
		.amdhsa_system_vgpr_workitem_id 1
		.amdhsa_next_free_vgpr 16
		.amdhsa_next_free_sgpr 44
		.amdhsa_reserve_vcc 1
		.amdhsa_reserve_flat_scratch 0
		.amdhsa_float_round_mode_32 0
		.amdhsa_float_round_mode_16_64 0
		.amdhsa_float_denorm_mode_32 3
		.amdhsa_float_denorm_mode_16_64 3
		.amdhsa_dx10_clamp 1
		.amdhsa_ieee_mode 1
		.amdhsa_fp16_overflow 0
		.amdhsa_exception_fp_ieee_invalid_op 0
		.amdhsa_exception_fp_denorm_src 0
		.amdhsa_exception_fp_ieee_div_zero 0
		.amdhsa_exception_fp_ieee_overflow 0
		.amdhsa_exception_fp_ieee_underflow 0
		.amdhsa_exception_fp_ieee_inexact 0
		.amdhsa_exception_int_div_zero 0
	.end_amdhsa_kernel
	.section	.text._ZN9rocsolver6v33100L11gemm_kernelIdlPKdPKPdS4_S4_EEvT0_S7_S7_T1_bT2_lS7_S7_lbT3_lS7_S7_lS8_T4_lS7_S7_l,"axG",@progbits,_ZN9rocsolver6v33100L11gemm_kernelIdlPKdPKPdS4_S4_EEvT0_S7_S7_T1_bT2_lS7_S7_lbT3_lS7_S7_lS8_T4_lS7_S7_l,comdat
.Lfunc_end56:
	.size	_ZN9rocsolver6v33100L11gemm_kernelIdlPKdPKPdS4_S4_EEvT0_S7_S7_T1_bT2_lS7_S7_lbT3_lS7_S7_lS8_T4_lS7_S7_l, .Lfunc_end56-_ZN9rocsolver6v33100L11gemm_kernelIdlPKdPKPdS4_S4_EEvT0_S7_S7_T1_bT2_lS7_S7_lbT3_lS7_S7_lS8_T4_lS7_S7_l
                                        ; -- End function
	.set _ZN9rocsolver6v33100L11gemm_kernelIdlPKdPKPdS4_S4_EEvT0_S7_S7_T1_bT2_lS7_S7_lbT3_lS7_S7_lS8_T4_lS7_S7_l.num_vgpr, 16
	.set _ZN9rocsolver6v33100L11gemm_kernelIdlPKdPKPdS4_S4_EEvT0_S7_S7_T1_bT2_lS7_S7_lbT3_lS7_S7_lS8_T4_lS7_S7_l.num_agpr, 0
	.set _ZN9rocsolver6v33100L11gemm_kernelIdlPKdPKPdS4_S4_EEvT0_S7_S7_T1_bT2_lS7_S7_lbT3_lS7_S7_lS8_T4_lS7_S7_l.numbered_sgpr, 44
	.set _ZN9rocsolver6v33100L11gemm_kernelIdlPKdPKPdS4_S4_EEvT0_S7_S7_T1_bT2_lS7_S7_lbT3_lS7_S7_lS8_T4_lS7_S7_l.num_named_barrier, 0
	.set _ZN9rocsolver6v33100L11gemm_kernelIdlPKdPKPdS4_S4_EEvT0_S7_S7_T1_bT2_lS7_S7_lbT3_lS7_S7_lS8_T4_lS7_S7_l.private_seg_size, 0
	.set _ZN9rocsolver6v33100L11gemm_kernelIdlPKdPKPdS4_S4_EEvT0_S7_S7_T1_bT2_lS7_S7_lbT3_lS7_S7_lS8_T4_lS7_S7_l.uses_vcc, 1
	.set _ZN9rocsolver6v33100L11gemm_kernelIdlPKdPKPdS4_S4_EEvT0_S7_S7_T1_bT2_lS7_S7_lbT3_lS7_S7_lS8_T4_lS7_S7_l.uses_flat_scratch, 0
	.set _ZN9rocsolver6v33100L11gemm_kernelIdlPKdPKPdS4_S4_EEvT0_S7_S7_T1_bT2_lS7_S7_lbT3_lS7_S7_lS8_T4_lS7_S7_l.has_dyn_sized_stack, 0
	.set _ZN9rocsolver6v33100L11gemm_kernelIdlPKdPKPdS4_S4_EEvT0_S7_S7_T1_bT2_lS7_S7_lbT3_lS7_S7_lS8_T4_lS7_S7_l.has_recursion, 0
	.set _ZN9rocsolver6v33100L11gemm_kernelIdlPKdPKPdS4_S4_EEvT0_S7_S7_T1_bT2_lS7_S7_lbT3_lS7_S7_lS8_T4_lS7_S7_l.has_indirect_call, 0
	.section	.AMDGPU.csdata,"",@progbits
; Kernel info:
; codeLenInByte = 628
; TotalNumSgprs: 48
; NumVgprs: 16
; ScratchSize: 0
; MemoryBound: 0
; FloatMode: 240
; IeeeMode: 1
; LDSByteSize: 0 bytes/workgroup (compile time only)
; SGPRBlocks: 5
; VGPRBlocks: 3
; NumSGPRsForWavesPerEU: 48
; NumVGPRsForWavesPerEU: 16
; Occupancy: 10
; WaveLimiterHint : 0
; COMPUTE_PGM_RSRC2:SCRATCH_EN: 0
; COMPUTE_PGM_RSRC2:USER_SGPR: 6
; COMPUTE_PGM_RSRC2:TRAP_HANDLER: 0
; COMPUTE_PGM_RSRC2:TGID_X_EN: 1
; COMPUTE_PGM_RSRC2:TGID_Y_EN: 1
; COMPUTE_PGM_RSRC2:TGID_Z_EN: 1
; COMPUTE_PGM_RSRC2:TIDIG_COMP_CNT: 1
	.section	.text._ZN9rocsolver6v33100L11gemm_kernelIdldPKPdS2_S2_EEvT0_S5_S5_T1_bT2_lS5_S5_lbT3_lS5_S5_lS6_T4_lS5_S5_l,"axG",@progbits,_ZN9rocsolver6v33100L11gemm_kernelIdldPKPdS2_S2_EEvT0_S5_S5_T1_bT2_lS5_S5_lbT3_lS5_S5_lS6_T4_lS5_S5_l,comdat
	.globl	_ZN9rocsolver6v33100L11gemm_kernelIdldPKPdS2_S2_EEvT0_S5_S5_T1_bT2_lS5_S5_lbT3_lS5_S5_lS6_T4_lS5_S5_l ; -- Begin function _ZN9rocsolver6v33100L11gemm_kernelIdldPKPdS2_S2_EEvT0_S5_S5_T1_bT2_lS5_S5_lbT3_lS5_S5_lS6_T4_lS5_S5_l
	.p2align	8
	.type	_ZN9rocsolver6v33100L11gemm_kernelIdldPKPdS2_S2_EEvT0_S5_S5_T1_bT2_lS5_S5_lbT3_lS5_S5_lS6_T4_lS5_S5_l,@function
_ZN9rocsolver6v33100L11gemm_kernelIdldPKPdS2_S2_EEvT0_S5_S5_T1_bT2_lS5_S5_lbT3_lS5_S5_lS6_T4_lS5_S5_l: ; @_ZN9rocsolver6v33100L11gemm_kernelIdldPKPdS2_S2_EEvT0_S5_S5_T1_bT2_lS5_S5_lbT3_lS5_S5_lS6_T4_lS5_S5_l
; %bb.0:
	s_load_dword s0, s[4:5], 0xbc
	s_load_dwordx8 s[24:31], s[4:5], 0x0
	v_mov_b32_e32 v2, v0
	v_mov_b32_e32 v3, 0
	;; [unrolled: 1-line block ×3, first 2 shown]
	s_waitcnt lgkmcnt(0)
	s_lshr_b32 s2, s0, 16
	s_and_b32 s0, s0, 0xffff
	v_mad_u64_u32 v[4:5], s[0:1], s0, v0, v[2:3]
	v_mov_b32_e32 v2, v3
	v_mov_b32_e32 v0, s7
	v_mad_u64_u32 v[0:1], s[0:1], s2, v0, v[1:2]
	v_cmp_gt_i64_e32 vcc, s[24:25], v[4:5]
	v_cmp_gt_i64_e64 s[0:1], s[26:27], v[0:1]
	s_and_b64 s[0:1], vcc, s[0:1]
	s_and_saveexec_b64 s[2:3], s[0:1]
	s_cbranch_execz .LBB57_6
; %bb.1:
	s_load_dwordx16 s[12:27], s[4:5], 0x58
	v_cmp_lt_i64_e64 s[0:1], s[28:29], 1
	s_mov_b32 s9, 0
	s_and_b64 vcc, exec, s[0:1]
	s_cbranch_vccnz .LBB57_4
; %bb.2:
	s_load_dwordx8 s[36:43], s[4:5], 0x28
	s_lshl_b64 s[0:1], s[8:9], 3
	s_waitcnt lgkmcnt(0)
	s_mul_i32 s3, s21, s8
	s_mul_hi_u32 s9, s20, s8
	s_mul_i32 s2, s20, s8
	s_add_u32 s0, s36, s0
	s_addc_u32 s1, s37, s1
	s_load_dwordx2 s[0:1], s[0:1], 0x0
	s_lshl_b64 s[6:7], s[38:39], 3
	v_mul_lo_u32 v6, v5, s40
	v_mul_lo_u32 v7, v4, s41
	v_mul_lo_u32 v10, v1, s18
	s_waitcnt lgkmcnt(0)
	s_add_u32 s6, s0, s6
	s_addc_u32 s7, s1, s7
	s_add_i32 s3, s9, s3
	s_lshl_b64 s[0:1], s[2:3], 3
	s_add_u32 s2, s12, s0
	s_addc_u32 s3, s13, s1
	v_mad_u64_u32 v[2:3], s[0:1], v4, s40, 0
	s_lshl_b64 s[0:1], s[14:15], 3
	s_add_u32 s2, s2, s0
	s_addc_u32 s3, s3, s1
	v_mul_lo_u32 v11, v0, s19
	v_mad_u64_u32 v[8:9], s[0:1], v0, s18, 0
	v_add3_u32 v3, v3, v7, v6
	v_lshlrev_b64 v[2:3], 3, v[2:3]
	v_mov_b32_e32 v7, s7
	v_add_co_u32_e32 v6, vcc, s6, v2
	v_add3_u32 v9, v9, v11, v10
	v_addc_co_u32_e32 v7, vcc, v7, v3, vcc
	v_lshlrev_b64 v[2:3], 3, v[8:9]
	v_mov_b32_e32 v9, s3
	v_add_co_u32_e32 v8, vcc, s2, v2
	v_addc_co_u32_e32 v9, vcc, v9, v3, vcc
	s_lshl_b64 s[0:1], s[16:17], 3
	s_lshl_b64 s[2:3], s[42:43], 3
	v_mov_b32_e32 v2, 0
	v_mov_b32_e32 v3, 0
	;; [unrolled: 1-line block ×4, first 2 shown]
.LBB57_3:                               ; =>This Inner Loop Header: Depth=1
	flat_load_dwordx2 v[12:13], v[6:7]
	global_load_dwordx2 v[14:15], v[8:9], off
	v_add_co_u32_e32 v8, vcc, s0, v8
	v_addc_co_u32_e32 v9, vcc, v9, v10, vcc
	s_add_u32 s28, s28, -1
	v_add_co_u32_e32 v6, vcc, s2, v6
	s_addc_u32 s29, s29, -1
	s_cmp_eq_u64 s[28:29], 0
	v_addc_co_u32_e32 v7, vcc, v7, v11, vcc
	s_waitcnt vmcnt(0) lgkmcnt(0)
	v_fma_f64 v[2:3], v[12:13], v[14:15], v[2:3]
	s_cbranch_scc0 .LBB57_3
	s_branch .LBB57_5
.LBB57_4:
	v_mov_b32_e32 v2, 0
	v_mov_b32_e32 v3, 0
.LBB57_5:
	s_load_dwordx2 s[6:7], s[4:5], 0xa8
	s_load_dwordx4 s[0:3], s[4:5], 0x98
	s_waitcnt lgkmcnt(0)
	s_mul_i32 s5, s7, s8
	s_mul_hi_u32 s7, s6, s8
	v_mul_lo_u32 v6, v5, s0
	v_mul_lo_u32 v7, v4, s1
	v_mad_u64_u32 v[4:5], s[0:1], v4, s0, 0
	s_mul_i32 s4, s6, s8
	s_add_i32 s5, s7, s5
	s_lshl_b64 s[4:5], s[4:5], 3
	v_mul_lo_u32 v8, v1, s2
	v_mul_lo_u32 v9, v0, s3
	v_mad_u64_u32 v[0:1], s[0:1], v0, s2, 0
	s_add_u32 s6, s24, s4
	s_addc_u32 s7, s25, s5
	s_lshl_b64 s[4:5], s[26:27], 3
	v_add3_u32 v5, v5, v7, v6
	s_add_u32 s0, s6, s4
	v_lshlrev_b64 v[4:5], 3, v[4:5]
	s_addc_u32 s1, s7, s5
	v_add3_u32 v1, v1, v9, v8
	v_mov_b32_e32 v6, s1
	v_add_co_u32_e32 v4, vcc, s0, v4
	v_lshlrev_b64 v[0:1], 3, v[0:1]
	v_addc_co_u32_e32 v5, vcc, v6, v5, vcc
	v_add_co_u32_e32 v0, vcc, v4, v0
	v_addc_co_u32_e32 v1, vcc, v5, v1, vcc
	global_load_dwordx2 v[4:5], v[0:1], off
	s_waitcnt vmcnt(0)
	v_mul_f64 v[4:5], s[22:23], v[4:5]
	v_fma_f64 v[2:3], s[30:31], v[2:3], v[4:5]
	global_store_dwordx2 v[0:1], v[2:3], off
.LBB57_6:
	s_endpgm
	.section	.rodata,"a",@progbits
	.p2align	6, 0x0
	.amdhsa_kernel _ZN9rocsolver6v33100L11gemm_kernelIdldPKPdS2_S2_EEvT0_S5_S5_T1_bT2_lS5_S5_lbT3_lS5_S5_lS6_T4_lS5_S5_l
		.amdhsa_group_segment_fixed_size 0
		.amdhsa_private_segment_fixed_size 0
		.amdhsa_kernarg_size 432
		.amdhsa_user_sgpr_count 6
		.amdhsa_user_sgpr_private_segment_buffer 1
		.amdhsa_user_sgpr_dispatch_ptr 0
		.amdhsa_user_sgpr_queue_ptr 0
		.amdhsa_user_sgpr_kernarg_segment_ptr 1
		.amdhsa_user_sgpr_dispatch_id 0
		.amdhsa_user_sgpr_flat_scratch_init 0
		.amdhsa_user_sgpr_private_segment_size 0
		.amdhsa_uses_dynamic_stack 0
		.amdhsa_system_sgpr_private_segment_wavefront_offset 0
		.amdhsa_system_sgpr_workgroup_id_x 1
		.amdhsa_system_sgpr_workgroup_id_y 1
		.amdhsa_system_sgpr_workgroup_id_z 1
		.amdhsa_system_sgpr_workgroup_info 0
		.amdhsa_system_vgpr_workitem_id 1
		.amdhsa_next_free_vgpr 16
		.amdhsa_next_free_sgpr 44
		.amdhsa_reserve_vcc 1
		.amdhsa_reserve_flat_scratch 0
		.amdhsa_float_round_mode_32 0
		.amdhsa_float_round_mode_16_64 0
		.amdhsa_float_denorm_mode_32 3
		.amdhsa_float_denorm_mode_16_64 3
		.amdhsa_dx10_clamp 1
		.amdhsa_ieee_mode 1
		.amdhsa_fp16_overflow 0
		.amdhsa_exception_fp_ieee_invalid_op 0
		.amdhsa_exception_fp_denorm_src 0
		.amdhsa_exception_fp_ieee_div_zero 0
		.amdhsa_exception_fp_ieee_overflow 0
		.amdhsa_exception_fp_ieee_underflow 0
		.amdhsa_exception_fp_ieee_inexact 0
		.amdhsa_exception_int_div_zero 0
	.end_amdhsa_kernel
	.section	.text._ZN9rocsolver6v33100L11gemm_kernelIdldPKPdS2_S2_EEvT0_S5_S5_T1_bT2_lS5_S5_lbT3_lS5_S5_lS6_T4_lS5_S5_l,"axG",@progbits,_ZN9rocsolver6v33100L11gemm_kernelIdldPKPdS2_S2_EEvT0_S5_S5_T1_bT2_lS5_S5_lbT3_lS5_S5_lS6_T4_lS5_S5_l,comdat
.Lfunc_end57:
	.size	_ZN9rocsolver6v33100L11gemm_kernelIdldPKPdS2_S2_EEvT0_S5_S5_T1_bT2_lS5_S5_lbT3_lS5_S5_lS6_T4_lS5_S5_l, .Lfunc_end57-_ZN9rocsolver6v33100L11gemm_kernelIdldPKPdS2_S2_EEvT0_S5_S5_T1_bT2_lS5_S5_lbT3_lS5_S5_lS6_T4_lS5_S5_l
                                        ; -- End function
	.set _ZN9rocsolver6v33100L11gemm_kernelIdldPKPdS2_S2_EEvT0_S5_S5_T1_bT2_lS5_S5_lbT3_lS5_S5_lS6_T4_lS5_S5_l.num_vgpr, 16
	.set _ZN9rocsolver6v33100L11gemm_kernelIdldPKPdS2_S2_EEvT0_S5_S5_T1_bT2_lS5_S5_lbT3_lS5_S5_lS6_T4_lS5_S5_l.num_agpr, 0
	.set _ZN9rocsolver6v33100L11gemm_kernelIdldPKPdS2_S2_EEvT0_S5_S5_T1_bT2_lS5_S5_lbT3_lS5_S5_lS6_T4_lS5_S5_l.numbered_sgpr, 44
	.set _ZN9rocsolver6v33100L11gemm_kernelIdldPKPdS2_S2_EEvT0_S5_S5_T1_bT2_lS5_S5_lbT3_lS5_S5_lS6_T4_lS5_S5_l.num_named_barrier, 0
	.set _ZN9rocsolver6v33100L11gemm_kernelIdldPKPdS2_S2_EEvT0_S5_S5_T1_bT2_lS5_S5_lbT3_lS5_S5_lS6_T4_lS5_S5_l.private_seg_size, 0
	.set _ZN9rocsolver6v33100L11gemm_kernelIdldPKPdS2_S2_EEvT0_S5_S5_T1_bT2_lS5_S5_lbT3_lS5_S5_lS6_T4_lS5_S5_l.uses_vcc, 1
	.set _ZN9rocsolver6v33100L11gemm_kernelIdldPKPdS2_S2_EEvT0_S5_S5_T1_bT2_lS5_S5_lbT3_lS5_S5_lS6_T4_lS5_S5_l.uses_flat_scratch, 0
	.set _ZN9rocsolver6v33100L11gemm_kernelIdldPKPdS2_S2_EEvT0_S5_S5_T1_bT2_lS5_S5_lbT3_lS5_S5_lS6_T4_lS5_S5_l.has_dyn_sized_stack, 0
	.set _ZN9rocsolver6v33100L11gemm_kernelIdldPKPdS2_S2_EEvT0_S5_S5_T1_bT2_lS5_S5_lbT3_lS5_S5_lS6_T4_lS5_S5_l.has_recursion, 0
	.set _ZN9rocsolver6v33100L11gemm_kernelIdldPKPdS2_S2_EEvT0_S5_S5_T1_bT2_lS5_S5_lbT3_lS5_S5_lS6_T4_lS5_S5_l.has_indirect_call, 0
	.section	.AMDGPU.csdata,"",@progbits
; Kernel info:
; codeLenInByte = 608
; TotalNumSgprs: 48
; NumVgprs: 16
; ScratchSize: 0
; MemoryBound: 0
; FloatMode: 240
; IeeeMode: 1
; LDSByteSize: 0 bytes/workgroup (compile time only)
; SGPRBlocks: 5
; VGPRBlocks: 3
; NumSGPRsForWavesPerEU: 48
; NumVGPRsForWavesPerEU: 16
; Occupancy: 10
; WaveLimiterHint : 0
; COMPUTE_PGM_RSRC2:SCRATCH_EN: 0
; COMPUTE_PGM_RSRC2:USER_SGPR: 6
; COMPUTE_PGM_RSRC2:TRAP_HANDLER: 0
; COMPUTE_PGM_RSRC2:TGID_X_EN: 1
; COMPUTE_PGM_RSRC2:TGID_Y_EN: 1
; COMPUTE_PGM_RSRC2:TGID_Z_EN: 1
; COMPUTE_PGM_RSRC2:TIDIG_COMP_CNT: 1
	.section	.text._ZN9rocsolver6v33100L16mfma_gemm_kernelIdlPKdPdPKS4_S4_EEv18rocblas_operation_S7_T0_S8_S8_T1_T2_lS8_S8_lT3_lS8_S8_lS9_T4_lS8_S8_l,"axG",@progbits,_ZN9rocsolver6v33100L16mfma_gemm_kernelIdlPKdPdPKS4_S4_EEv18rocblas_operation_S7_T0_S8_S8_T1_T2_lS8_S8_lT3_lS8_S8_lS9_T4_lS8_S8_l,comdat
	.globl	_ZN9rocsolver6v33100L16mfma_gemm_kernelIdlPKdPdPKS4_S4_EEv18rocblas_operation_S7_T0_S8_S8_T1_T2_lS8_S8_lT3_lS8_S8_lS9_T4_lS8_S8_l ; -- Begin function _ZN9rocsolver6v33100L16mfma_gemm_kernelIdlPKdPdPKS4_S4_EEv18rocblas_operation_S7_T0_S8_S8_T1_T2_lS8_S8_lT3_lS8_S8_lS9_T4_lS8_S8_l
	.p2align	8
	.type	_ZN9rocsolver6v33100L16mfma_gemm_kernelIdlPKdPdPKS4_S4_EEv18rocblas_operation_S7_T0_S8_S8_T1_T2_lS8_S8_lT3_lS8_S8_lS9_T4_lS8_S8_l,@function
_ZN9rocsolver6v33100L16mfma_gemm_kernelIdlPKdPdPKS4_S4_EEv18rocblas_operation_S7_T0_S8_S8_T1_T2_lS8_S8_lT3_lS8_S8_lS9_T4_lS8_S8_l: ; @_ZN9rocsolver6v33100L16mfma_gemm_kernelIdlPKdPdPKS4_S4_EEv18rocblas_operation_S7_T0_S8_S8_T1_T2_lS8_S8_lT3_lS8_S8_lS9_T4_lS8_S8_l
; %bb.0:
	s_endpgm
	.section	.rodata,"a",@progbits
	.p2align	6, 0x0
	.amdhsa_kernel _ZN9rocsolver6v33100L16mfma_gemm_kernelIdlPKdPdPKS4_S4_EEv18rocblas_operation_S7_T0_S8_S8_T1_T2_lS8_S8_lT3_lS8_S8_lS9_T4_lS8_S8_l
		.amdhsa_group_segment_fixed_size 0
		.amdhsa_private_segment_fixed_size 0
		.amdhsa_kernarg_size 168
		.amdhsa_user_sgpr_count 6
		.amdhsa_user_sgpr_private_segment_buffer 1
		.amdhsa_user_sgpr_dispatch_ptr 0
		.amdhsa_user_sgpr_queue_ptr 0
		.amdhsa_user_sgpr_kernarg_segment_ptr 1
		.amdhsa_user_sgpr_dispatch_id 0
		.amdhsa_user_sgpr_flat_scratch_init 0
		.amdhsa_user_sgpr_private_segment_size 0
		.amdhsa_uses_dynamic_stack 0
		.amdhsa_system_sgpr_private_segment_wavefront_offset 0
		.amdhsa_system_sgpr_workgroup_id_x 1
		.amdhsa_system_sgpr_workgroup_id_y 0
		.amdhsa_system_sgpr_workgroup_id_z 0
		.amdhsa_system_sgpr_workgroup_info 0
		.amdhsa_system_vgpr_workitem_id 0
		.amdhsa_next_free_vgpr 1
		.amdhsa_next_free_sgpr 0
		.amdhsa_reserve_vcc 0
		.amdhsa_reserve_flat_scratch 0
		.amdhsa_float_round_mode_32 0
		.amdhsa_float_round_mode_16_64 0
		.amdhsa_float_denorm_mode_32 3
		.amdhsa_float_denorm_mode_16_64 3
		.amdhsa_dx10_clamp 1
		.amdhsa_ieee_mode 1
		.amdhsa_fp16_overflow 0
		.amdhsa_exception_fp_ieee_invalid_op 0
		.amdhsa_exception_fp_denorm_src 0
		.amdhsa_exception_fp_ieee_div_zero 0
		.amdhsa_exception_fp_ieee_overflow 0
		.amdhsa_exception_fp_ieee_underflow 0
		.amdhsa_exception_fp_ieee_inexact 0
		.amdhsa_exception_int_div_zero 0
	.end_amdhsa_kernel
	.section	.text._ZN9rocsolver6v33100L16mfma_gemm_kernelIdlPKdPdPKS4_S4_EEv18rocblas_operation_S7_T0_S8_S8_T1_T2_lS8_S8_lT3_lS8_S8_lS9_T4_lS8_S8_l,"axG",@progbits,_ZN9rocsolver6v33100L16mfma_gemm_kernelIdlPKdPdPKS4_S4_EEv18rocblas_operation_S7_T0_S8_S8_T1_T2_lS8_S8_lT3_lS8_S8_lS9_T4_lS8_S8_l,comdat
.Lfunc_end58:
	.size	_ZN9rocsolver6v33100L16mfma_gemm_kernelIdlPKdPdPKS4_S4_EEv18rocblas_operation_S7_T0_S8_S8_T1_T2_lS8_S8_lT3_lS8_S8_lS9_T4_lS8_S8_l, .Lfunc_end58-_ZN9rocsolver6v33100L16mfma_gemm_kernelIdlPKdPdPKS4_S4_EEv18rocblas_operation_S7_T0_S8_S8_T1_T2_lS8_S8_lT3_lS8_S8_lS9_T4_lS8_S8_l
                                        ; -- End function
	.set _ZN9rocsolver6v33100L16mfma_gemm_kernelIdlPKdPdPKS4_S4_EEv18rocblas_operation_S7_T0_S8_S8_T1_T2_lS8_S8_lT3_lS8_S8_lS9_T4_lS8_S8_l.num_vgpr, 0
	.set _ZN9rocsolver6v33100L16mfma_gemm_kernelIdlPKdPdPKS4_S4_EEv18rocblas_operation_S7_T0_S8_S8_T1_T2_lS8_S8_lT3_lS8_S8_lS9_T4_lS8_S8_l.num_agpr, 0
	.set _ZN9rocsolver6v33100L16mfma_gemm_kernelIdlPKdPdPKS4_S4_EEv18rocblas_operation_S7_T0_S8_S8_T1_T2_lS8_S8_lT3_lS8_S8_lS9_T4_lS8_S8_l.numbered_sgpr, 0
	.set _ZN9rocsolver6v33100L16mfma_gemm_kernelIdlPKdPdPKS4_S4_EEv18rocblas_operation_S7_T0_S8_S8_T1_T2_lS8_S8_lT3_lS8_S8_lS9_T4_lS8_S8_l.num_named_barrier, 0
	.set _ZN9rocsolver6v33100L16mfma_gemm_kernelIdlPKdPdPKS4_S4_EEv18rocblas_operation_S7_T0_S8_S8_T1_T2_lS8_S8_lT3_lS8_S8_lS9_T4_lS8_S8_l.private_seg_size, 0
	.set _ZN9rocsolver6v33100L16mfma_gemm_kernelIdlPKdPdPKS4_S4_EEv18rocblas_operation_S7_T0_S8_S8_T1_T2_lS8_S8_lT3_lS8_S8_lS9_T4_lS8_S8_l.uses_vcc, 0
	.set _ZN9rocsolver6v33100L16mfma_gemm_kernelIdlPKdPdPKS4_S4_EEv18rocblas_operation_S7_T0_S8_S8_T1_T2_lS8_S8_lT3_lS8_S8_lS9_T4_lS8_S8_l.uses_flat_scratch, 0
	.set _ZN9rocsolver6v33100L16mfma_gemm_kernelIdlPKdPdPKS4_S4_EEv18rocblas_operation_S7_T0_S8_S8_T1_T2_lS8_S8_lT3_lS8_S8_lS9_T4_lS8_S8_l.has_dyn_sized_stack, 0
	.set _ZN9rocsolver6v33100L16mfma_gemm_kernelIdlPKdPdPKS4_S4_EEv18rocblas_operation_S7_T0_S8_S8_T1_T2_lS8_S8_lT3_lS8_S8_lS9_T4_lS8_S8_l.has_recursion, 0
	.set _ZN9rocsolver6v33100L16mfma_gemm_kernelIdlPKdPdPKS4_S4_EEv18rocblas_operation_S7_T0_S8_S8_T1_T2_lS8_S8_lT3_lS8_S8_lS9_T4_lS8_S8_l.has_indirect_call, 0
	.section	.AMDGPU.csdata,"",@progbits
; Kernel info:
; codeLenInByte = 4
; TotalNumSgprs: 4
; NumVgprs: 0
; ScratchSize: 0
; MemoryBound: 0
; FloatMode: 240
; IeeeMode: 1
; LDSByteSize: 0 bytes/workgroup (compile time only)
; SGPRBlocks: 0
; VGPRBlocks: 0
; NumSGPRsForWavesPerEU: 4
; NumVGPRsForWavesPerEU: 1
; Occupancy: 10
; WaveLimiterHint : 0
; COMPUTE_PGM_RSRC2:SCRATCH_EN: 0
; COMPUTE_PGM_RSRC2:USER_SGPR: 6
; COMPUTE_PGM_RSRC2:TRAP_HANDLER: 0
; COMPUTE_PGM_RSRC2:TGID_X_EN: 1
; COMPUTE_PGM_RSRC2:TGID_Y_EN: 0
; COMPUTE_PGM_RSRC2:TGID_Z_EN: 0
; COMPUTE_PGM_RSRC2:TIDIG_COMP_CNT: 0
	.section	.text._ZN9rocsolver6v33100L16mfma_gemm_kernelIdldPdPKS2_S2_EEv18rocblas_operation_S5_T0_S6_S6_T1_T2_lS6_S6_lT3_lS6_S6_lS7_T4_lS6_S6_l,"axG",@progbits,_ZN9rocsolver6v33100L16mfma_gemm_kernelIdldPdPKS2_S2_EEv18rocblas_operation_S5_T0_S6_S6_T1_T2_lS6_S6_lT3_lS6_S6_lS7_T4_lS6_S6_l,comdat
	.globl	_ZN9rocsolver6v33100L16mfma_gemm_kernelIdldPdPKS2_S2_EEv18rocblas_operation_S5_T0_S6_S6_T1_T2_lS6_S6_lT3_lS6_S6_lS7_T4_lS6_S6_l ; -- Begin function _ZN9rocsolver6v33100L16mfma_gemm_kernelIdldPdPKS2_S2_EEv18rocblas_operation_S5_T0_S6_S6_T1_T2_lS6_S6_lT3_lS6_S6_lS7_T4_lS6_S6_l
	.p2align	8
	.type	_ZN9rocsolver6v33100L16mfma_gemm_kernelIdldPdPKS2_S2_EEv18rocblas_operation_S5_T0_S6_S6_T1_T2_lS6_S6_lT3_lS6_S6_lS7_T4_lS6_S6_l,@function
_ZN9rocsolver6v33100L16mfma_gemm_kernelIdldPdPKS2_S2_EEv18rocblas_operation_S5_T0_S6_S6_T1_T2_lS6_S6_lT3_lS6_S6_lS7_T4_lS6_S6_l: ; @_ZN9rocsolver6v33100L16mfma_gemm_kernelIdldPdPKS2_S2_EEv18rocblas_operation_S5_T0_S6_S6_T1_T2_lS6_S6_lT3_lS6_S6_lS7_T4_lS6_S6_l
; %bb.0:
	s_endpgm
	.section	.rodata,"a",@progbits
	.p2align	6, 0x0
	.amdhsa_kernel _ZN9rocsolver6v33100L16mfma_gemm_kernelIdldPdPKS2_S2_EEv18rocblas_operation_S5_T0_S6_S6_T1_T2_lS6_S6_lT3_lS6_S6_lS7_T4_lS6_S6_l
		.amdhsa_group_segment_fixed_size 0
		.amdhsa_private_segment_fixed_size 0
		.amdhsa_kernarg_size 168
		.amdhsa_user_sgpr_count 6
		.amdhsa_user_sgpr_private_segment_buffer 1
		.amdhsa_user_sgpr_dispatch_ptr 0
		.amdhsa_user_sgpr_queue_ptr 0
		.amdhsa_user_sgpr_kernarg_segment_ptr 1
		.amdhsa_user_sgpr_dispatch_id 0
		.amdhsa_user_sgpr_flat_scratch_init 0
		.amdhsa_user_sgpr_private_segment_size 0
		.amdhsa_uses_dynamic_stack 0
		.amdhsa_system_sgpr_private_segment_wavefront_offset 0
		.amdhsa_system_sgpr_workgroup_id_x 1
		.amdhsa_system_sgpr_workgroup_id_y 0
		.amdhsa_system_sgpr_workgroup_id_z 0
		.amdhsa_system_sgpr_workgroup_info 0
		.amdhsa_system_vgpr_workitem_id 0
		.amdhsa_next_free_vgpr 1
		.amdhsa_next_free_sgpr 0
		.amdhsa_reserve_vcc 0
		.amdhsa_reserve_flat_scratch 0
		.amdhsa_float_round_mode_32 0
		.amdhsa_float_round_mode_16_64 0
		.amdhsa_float_denorm_mode_32 3
		.amdhsa_float_denorm_mode_16_64 3
		.amdhsa_dx10_clamp 1
		.amdhsa_ieee_mode 1
		.amdhsa_fp16_overflow 0
		.amdhsa_exception_fp_ieee_invalid_op 0
		.amdhsa_exception_fp_denorm_src 0
		.amdhsa_exception_fp_ieee_div_zero 0
		.amdhsa_exception_fp_ieee_overflow 0
		.amdhsa_exception_fp_ieee_underflow 0
		.amdhsa_exception_fp_ieee_inexact 0
		.amdhsa_exception_int_div_zero 0
	.end_amdhsa_kernel
	.section	.text._ZN9rocsolver6v33100L16mfma_gemm_kernelIdldPdPKS2_S2_EEv18rocblas_operation_S5_T0_S6_S6_T1_T2_lS6_S6_lT3_lS6_S6_lS7_T4_lS6_S6_l,"axG",@progbits,_ZN9rocsolver6v33100L16mfma_gemm_kernelIdldPdPKS2_S2_EEv18rocblas_operation_S5_T0_S6_S6_T1_T2_lS6_S6_lT3_lS6_S6_lS7_T4_lS6_S6_l,comdat
.Lfunc_end59:
	.size	_ZN9rocsolver6v33100L16mfma_gemm_kernelIdldPdPKS2_S2_EEv18rocblas_operation_S5_T0_S6_S6_T1_T2_lS6_S6_lT3_lS6_S6_lS7_T4_lS6_S6_l, .Lfunc_end59-_ZN9rocsolver6v33100L16mfma_gemm_kernelIdldPdPKS2_S2_EEv18rocblas_operation_S5_T0_S6_S6_T1_T2_lS6_S6_lT3_lS6_S6_lS7_T4_lS6_S6_l
                                        ; -- End function
	.set _ZN9rocsolver6v33100L16mfma_gemm_kernelIdldPdPKS2_S2_EEv18rocblas_operation_S5_T0_S6_S6_T1_T2_lS6_S6_lT3_lS6_S6_lS7_T4_lS6_S6_l.num_vgpr, 0
	.set _ZN9rocsolver6v33100L16mfma_gemm_kernelIdldPdPKS2_S2_EEv18rocblas_operation_S5_T0_S6_S6_T1_T2_lS6_S6_lT3_lS6_S6_lS7_T4_lS6_S6_l.num_agpr, 0
	.set _ZN9rocsolver6v33100L16mfma_gemm_kernelIdldPdPKS2_S2_EEv18rocblas_operation_S5_T0_S6_S6_T1_T2_lS6_S6_lT3_lS6_S6_lS7_T4_lS6_S6_l.numbered_sgpr, 0
	.set _ZN9rocsolver6v33100L16mfma_gemm_kernelIdldPdPKS2_S2_EEv18rocblas_operation_S5_T0_S6_S6_T1_T2_lS6_S6_lT3_lS6_S6_lS7_T4_lS6_S6_l.num_named_barrier, 0
	.set _ZN9rocsolver6v33100L16mfma_gemm_kernelIdldPdPKS2_S2_EEv18rocblas_operation_S5_T0_S6_S6_T1_T2_lS6_S6_lT3_lS6_S6_lS7_T4_lS6_S6_l.private_seg_size, 0
	.set _ZN9rocsolver6v33100L16mfma_gemm_kernelIdldPdPKS2_S2_EEv18rocblas_operation_S5_T0_S6_S6_T1_T2_lS6_S6_lT3_lS6_S6_lS7_T4_lS6_S6_l.uses_vcc, 0
	.set _ZN9rocsolver6v33100L16mfma_gemm_kernelIdldPdPKS2_S2_EEv18rocblas_operation_S5_T0_S6_S6_T1_T2_lS6_S6_lT3_lS6_S6_lS7_T4_lS6_S6_l.uses_flat_scratch, 0
	.set _ZN9rocsolver6v33100L16mfma_gemm_kernelIdldPdPKS2_S2_EEv18rocblas_operation_S5_T0_S6_S6_T1_T2_lS6_S6_lT3_lS6_S6_lS7_T4_lS6_S6_l.has_dyn_sized_stack, 0
	.set _ZN9rocsolver6v33100L16mfma_gemm_kernelIdldPdPKS2_S2_EEv18rocblas_operation_S5_T0_S6_S6_T1_T2_lS6_S6_lT3_lS6_S6_lS7_T4_lS6_S6_l.has_recursion, 0
	.set _ZN9rocsolver6v33100L16mfma_gemm_kernelIdldPdPKS2_S2_EEv18rocblas_operation_S5_T0_S6_S6_T1_T2_lS6_S6_lT3_lS6_S6_lS7_T4_lS6_S6_l.has_indirect_call, 0
	.section	.AMDGPU.csdata,"",@progbits
; Kernel info:
; codeLenInByte = 4
; TotalNumSgprs: 4
; NumVgprs: 0
; ScratchSize: 0
; MemoryBound: 0
; FloatMode: 240
; IeeeMode: 1
; LDSByteSize: 0 bytes/workgroup (compile time only)
; SGPRBlocks: 0
; VGPRBlocks: 0
; NumSGPRsForWavesPerEU: 4
; NumVGPRsForWavesPerEU: 1
; Occupancy: 10
; WaveLimiterHint : 0
; COMPUTE_PGM_RSRC2:SCRATCH_EN: 0
; COMPUTE_PGM_RSRC2:USER_SGPR: 6
; COMPUTE_PGM_RSRC2:TRAP_HANDLER: 0
; COMPUTE_PGM_RSRC2:TGID_X_EN: 1
; COMPUTE_PGM_RSRC2:TGID_Y_EN: 0
; COMPUTE_PGM_RSRC2:TGID_Z_EN: 0
; COMPUTE_PGM_RSRC2:TIDIG_COMP_CNT: 0
	.section	.text._ZN9rocsolver6v33100L11gemm_kernelIdlPKdPdPKS4_S4_EEvT0_S7_S7_T1_bT2_lS7_S7_lbT3_lS7_S7_lS8_T4_lS7_S7_l,"axG",@progbits,_ZN9rocsolver6v33100L11gemm_kernelIdlPKdPdPKS4_S4_EEvT0_S7_S7_T1_bT2_lS7_S7_lbT3_lS7_S7_lS8_T4_lS7_S7_l,comdat
	.globl	_ZN9rocsolver6v33100L11gemm_kernelIdlPKdPdPKS4_S4_EEvT0_S7_S7_T1_bT2_lS7_S7_lbT3_lS7_S7_lS8_T4_lS7_S7_l ; -- Begin function _ZN9rocsolver6v33100L11gemm_kernelIdlPKdPdPKS4_S4_EEvT0_S7_S7_T1_bT2_lS7_S7_lbT3_lS7_S7_lS8_T4_lS7_S7_l
	.p2align	8
	.type	_ZN9rocsolver6v33100L11gemm_kernelIdlPKdPdPKS4_S4_EEvT0_S7_S7_T1_bT2_lS7_S7_lbT3_lS7_S7_lS8_T4_lS7_S7_l,@function
_ZN9rocsolver6v33100L11gemm_kernelIdlPKdPdPKS4_S4_EEvT0_S7_S7_T1_bT2_lS7_S7_lbT3_lS7_S7_lS8_T4_lS7_S7_l: ; @_ZN9rocsolver6v33100L11gemm_kernelIdlPKdPdPKS4_S4_EEvT0_S7_S7_T1_bT2_lS7_S7_lbT3_lS7_S7_lS8_T4_lS7_S7_l
; %bb.0:
	s_load_dword s0, s[4:5], 0xbc
	s_load_dwordx8 s[12:19], s[4:5], 0x0
	v_mov_b32_e32 v2, v0
	v_mov_b32_e32 v3, 0
	;; [unrolled: 1-line block ×3, first 2 shown]
	s_waitcnt lgkmcnt(0)
	s_lshr_b32 s2, s0, 16
	s_and_b32 s0, s0, 0xffff
	v_mad_u64_u32 v[4:5], s[0:1], s0, v0, v[2:3]
	v_mov_b32_e32 v2, v3
	v_mov_b32_e32 v0, s7
	v_mad_u64_u32 v[0:1], s[0:1], s2, v0, v[1:2]
	v_cmp_gt_i64_e32 vcc, s[12:13], v[4:5]
	v_cmp_gt_i64_e64 s[0:1], s[14:15], v[0:1]
	s_and_b64 s[0:1], vcc, s[0:1]
	s_and_saveexec_b64 s[2:3], s[0:1]
	s_cbranch_execz .LBB60_6
; %bb.1:
	s_load_dwordx8 s[20:27], s[4:5], 0x80
	s_load_dwordx4 s[0:3], s[4:5], 0xa0
	v_cmp_lt_i64_e64 s[6:7], s[16:17], 1
	s_mov_b32 s9, 0
	s_and_b64 vcc, exec, s[6:7]
	s_cbranch_vccnz .LBB60_4
; %bb.2:
	s_load_dwordx8 s[36:43], s[4:5], 0x58
	s_load_dwordx2 s[6:7], s[4:5], 0x48
	s_load_dwordx8 s[44:51], s[4:5], 0x28
	s_lshl_b64 s[4:5], s[8:9], 3
	s_waitcnt lgkmcnt(0)
	s_add_u32 s4, s36, s4
	s_mul_i32 s7, s7, s8
	s_mul_hi_u32 s9, s6, s8
	s_addc_u32 s5, s37, s5
	s_add_i32 s7, s9, s7
	s_mul_i32 s6, s6, s8
	s_lshl_b64 s[6:7], s[6:7], 3
	s_load_dwordx2 s[4:5], s[4:5], 0x0
	s_add_u32 s9, s44, s6
	s_addc_u32 s10, s45, s7
	s_lshl_b64 s[6:7], s[46:47], 3
	s_add_u32 s9, s9, s6
	s_addc_u32 s10, s10, s7
	v_mul_lo_u32 v6, v5, s48
	v_mul_lo_u32 v7, v4, s49
	v_mad_u64_u32 v[2:3], s[6:7], v4, s48, 0
	s_lshl_b64 s[6:7], s[38:39], 3
	s_waitcnt lgkmcnt(0)
	s_add_u32 s6, s4, s6
	s_addc_u32 s7, s5, s7
	v_mul_lo_u32 v10, v1, s42
	v_mul_lo_u32 v11, v0, s43
	v_mad_u64_u32 v[8:9], s[4:5], v0, s42, 0
	v_add3_u32 v3, v3, v7, v6
	v_lshlrev_b64 v[2:3], 3, v[2:3]
	v_mov_b32_e32 v7, s10
	v_add_co_u32_e32 v6, vcc, s9, v2
	v_add3_u32 v9, v9, v11, v10
	v_addc_co_u32_e32 v7, vcc, v7, v3, vcc
	v_lshlrev_b64 v[2:3], 3, v[8:9]
	v_mov_b32_e32 v9, s7
	v_add_co_u32_e32 v8, vcc, s6, v2
	v_addc_co_u32_e32 v9, vcc, v9, v3, vcc
	s_lshl_b64 s[4:5], s[40:41], 3
	s_lshl_b64 s[6:7], s[50:51], 3
	v_mov_b32_e32 v2, 0
	v_mov_b32_e32 v3, 0
	;; [unrolled: 1-line block ×4, first 2 shown]
.LBB60_3:                               ; =>This Inner Loop Header: Depth=1
	global_load_dwordx2 v[12:13], v[6:7], off
	flat_load_dwordx2 v[14:15], v[8:9]
	v_add_co_u32_e32 v8, vcc, s4, v8
	v_addc_co_u32_e32 v9, vcc, v9, v10, vcc
	s_add_u32 s16, s16, -1
	v_add_co_u32_e32 v6, vcc, s6, v6
	s_addc_u32 s17, s17, -1
	s_cmp_eq_u64 s[16:17], 0
	v_addc_co_u32_e32 v7, vcc, v7, v11, vcc
	s_waitcnt vmcnt(0) lgkmcnt(0)
	v_fma_f64 v[2:3], v[12:13], v[14:15], v[2:3]
	s_cbranch_scc0 .LBB60_3
	s_branch .LBB60_5
.LBB60_4:
	v_mov_b32_e32 v2, 0
	v_mov_b32_e32 v3, 0
.LBB60_5:
	s_waitcnt lgkmcnt(0)
	s_mul_i32 s3, s3, s8
	s_mul_hi_u32 s9, s2, s8
	s_add_i32 s3, s9, s3
	s_mul_i32 s2, s2, s8
	v_mul_lo_u32 v6, v5, s26
	v_mul_lo_u32 v7, v4, s27
	v_mad_u64_u32 v[4:5], s[8:9], v4, s26, 0
	s_lshl_b64 s[2:3], s[2:3], 3
	v_mul_lo_u32 v8, v1, s0
	v_mul_lo_u32 v9, v0, s1
	v_mad_u64_u32 v[0:1], s[0:1], v0, s0, 0
	s_add_u32 s10, s22, s2
	s_addc_u32 s11, s23, s3
	s_lshl_b64 s[2:3], s[24:25], 3
	v_add3_u32 v5, v5, v7, v6
	s_add_u32 s0, s10, s2
	v_lshlrev_b64 v[4:5], 3, v[4:5]
	s_addc_u32 s1, s11, s3
	v_add3_u32 v1, v1, v9, v8
	v_mov_b32_e32 v6, s1
	v_add_co_u32_e32 v4, vcc, s0, v4
	v_lshlrev_b64 v[0:1], 3, v[0:1]
	v_addc_co_u32_e32 v5, vcc, v6, v5, vcc
	v_add_co_u32_e32 v0, vcc, v4, v0
	v_addc_co_u32_e32 v1, vcc, v5, v1, vcc
	s_load_dwordx2 s[4:5], s[18:19], 0x0
	s_load_dwordx2 s[6:7], s[20:21], 0x0
	global_load_dwordx2 v[4:5], v[0:1], off
	s_waitcnt vmcnt(0) lgkmcnt(0)
	v_mul_f64 v[4:5], s[6:7], v[4:5]
	v_fma_f64 v[2:3], s[4:5], v[2:3], v[4:5]
	global_store_dwordx2 v[0:1], v[2:3], off
.LBB60_6:
	s_endpgm
	.section	.rodata,"a",@progbits
	.p2align	6, 0x0
	.amdhsa_kernel _ZN9rocsolver6v33100L11gemm_kernelIdlPKdPdPKS4_S4_EEvT0_S7_S7_T1_bT2_lS7_S7_lbT3_lS7_S7_lS8_T4_lS7_S7_l
		.amdhsa_group_segment_fixed_size 0
		.amdhsa_private_segment_fixed_size 0
		.amdhsa_kernarg_size 432
		.amdhsa_user_sgpr_count 6
		.amdhsa_user_sgpr_private_segment_buffer 1
		.amdhsa_user_sgpr_dispatch_ptr 0
		.amdhsa_user_sgpr_queue_ptr 0
		.amdhsa_user_sgpr_kernarg_segment_ptr 1
		.amdhsa_user_sgpr_dispatch_id 0
		.amdhsa_user_sgpr_flat_scratch_init 0
		.amdhsa_user_sgpr_private_segment_size 0
		.amdhsa_uses_dynamic_stack 0
		.amdhsa_system_sgpr_private_segment_wavefront_offset 0
		.amdhsa_system_sgpr_workgroup_id_x 1
		.amdhsa_system_sgpr_workgroup_id_y 1
		.amdhsa_system_sgpr_workgroup_id_z 1
		.amdhsa_system_sgpr_workgroup_info 0
		.amdhsa_system_vgpr_workitem_id 1
		.amdhsa_next_free_vgpr 16
		.amdhsa_next_free_sgpr 52
		.amdhsa_reserve_vcc 1
		.amdhsa_reserve_flat_scratch 0
		.amdhsa_float_round_mode_32 0
		.amdhsa_float_round_mode_16_64 0
		.amdhsa_float_denorm_mode_32 3
		.amdhsa_float_denorm_mode_16_64 3
		.amdhsa_dx10_clamp 1
		.amdhsa_ieee_mode 1
		.amdhsa_fp16_overflow 0
		.amdhsa_exception_fp_ieee_invalid_op 0
		.amdhsa_exception_fp_denorm_src 0
		.amdhsa_exception_fp_ieee_div_zero 0
		.amdhsa_exception_fp_ieee_overflow 0
		.amdhsa_exception_fp_ieee_underflow 0
		.amdhsa_exception_fp_ieee_inexact 0
		.amdhsa_exception_int_div_zero 0
	.end_amdhsa_kernel
	.section	.text._ZN9rocsolver6v33100L11gemm_kernelIdlPKdPdPKS4_S4_EEvT0_S7_S7_T1_bT2_lS7_S7_lbT3_lS7_S7_lS8_T4_lS7_S7_l,"axG",@progbits,_ZN9rocsolver6v33100L11gemm_kernelIdlPKdPdPKS4_S4_EEvT0_S7_S7_T1_bT2_lS7_S7_lbT3_lS7_S7_lS8_T4_lS7_S7_l,comdat
.Lfunc_end60:
	.size	_ZN9rocsolver6v33100L11gemm_kernelIdlPKdPdPKS4_S4_EEvT0_S7_S7_T1_bT2_lS7_S7_lbT3_lS7_S7_lS8_T4_lS7_S7_l, .Lfunc_end60-_ZN9rocsolver6v33100L11gemm_kernelIdlPKdPdPKS4_S4_EEvT0_S7_S7_T1_bT2_lS7_S7_lbT3_lS7_S7_lS8_T4_lS7_S7_l
                                        ; -- End function
	.set _ZN9rocsolver6v33100L11gemm_kernelIdlPKdPdPKS4_S4_EEvT0_S7_S7_T1_bT2_lS7_S7_lbT3_lS7_S7_lS8_T4_lS7_S7_l.num_vgpr, 16
	.set _ZN9rocsolver6v33100L11gemm_kernelIdlPKdPdPKS4_S4_EEvT0_S7_S7_T1_bT2_lS7_S7_lbT3_lS7_S7_lS8_T4_lS7_S7_l.num_agpr, 0
	.set _ZN9rocsolver6v33100L11gemm_kernelIdlPKdPdPKS4_S4_EEvT0_S7_S7_T1_bT2_lS7_S7_lbT3_lS7_S7_lS8_T4_lS7_S7_l.numbered_sgpr, 52
	.set _ZN9rocsolver6v33100L11gemm_kernelIdlPKdPdPKS4_S4_EEvT0_S7_S7_T1_bT2_lS7_S7_lbT3_lS7_S7_lS8_T4_lS7_S7_l.num_named_barrier, 0
	.set _ZN9rocsolver6v33100L11gemm_kernelIdlPKdPdPKS4_S4_EEvT0_S7_S7_T1_bT2_lS7_S7_lbT3_lS7_S7_lS8_T4_lS7_S7_l.private_seg_size, 0
	.set _ZN9rocsolver6v33100L11gemm_kernelIdlPKdPdPKS4_S4_EEvT0_S7_S7_T1_bT2_lS7_S7_lbT3_lS7_S7_lS8_T4_lS7_S7_l.uses_vcc, 1
	.set _ZN9rocsolver6v33100L11gemm_kernelIdlPKdPdPKS4_S4_EEvT0_S7_S7_T1_bT2_lS7_S7_lbT3_lS7_S7_lS8_T4_lS7_S7_l.uses_flat_scratch, 0
	.set _ZN9rocsolver6v33100L11gemm_kernelIdlPKdPdPKS4_S4_EEvT0_S7_S7_T1_bT2_lS7_S7_lbT3_lS7_S7_lS8_T4_lS7_S7_l.has_dyn_sized_stack, 0
	.set _ZN9rocsolver6v33100L11gemm_kernelIdlPKdPdPKS4_S4_EEvT0_S7_S7_T1_bT2_lS7_S7_lbT3_lS7_S7_lS8_T4_lS7_S7_l.has_recursion, 0
	.set _ZN9rocsolver6v33100L11gemm_kernelIdlPKdPdPKS4_S4_EEvT0_S7_S7_T1_bT2_lS7_S7_lbT3_lS7_S7_lS8_T4_lS7_S7_l.has_indirect_call, 0
	.section	.AMDGPU.csdata,"",@progbits
; Kernel info:
; codeLenInByte = 632
; TotalNumSgprs: 56
; NumVgprs: 16
; ScratchSize: 0
; MemoryBound: 0
; FloatMode: 240
; IeeeMode: 1
; LDSByteSize: 0 bytes/workgroup (compile time only)
; SGPRBlocks: 6
; VGPRBlocks: 3
; NumSGPRsForWavesPerEU: 56
; NumVGPRsForWavesPerEU: 16
; Occupancy: 10
; WaveLimiterHint : 0
; COMPUTE_PGM_RSRC2:SCRATCH_EN: 0
; COMPUTE_PGM_RSRC2:USER_SGPR: 6
; COMPUTE_PGM_RSRC2:TRAP_HANDLER: 0
; COMPUTE_PGM_RSRC2:TGID_X_EN: 1
; COMPUTE_PGM_RSRC2:TGID_Y_EN: 1
; COMPUTE_PGM_RSRC2:TGID_Z_EN: 1
; COMPUTE_PGM_RSRC2:TIDIG_COMP_CNT: 1
	.section	.text._ZN9rocsolver6v33100L11gemm_kernelIdldPdPKS2_S2_EEvT0_S5_S5_T1_bT2_lS5_S5_lbT3_lS5_S5_lS6_T4_lS5_S5_l,"axG",@progbits,_ZN9rocsolver6v33100L11gemm_kernelIdldPdPKS2_S2_EEvT0_S5_S5_T1_bT2_lS5_S5_lbT3_lS5_S5_lS6_T4_lS5_S5_l,comdat
	.globl	_ZN9rocsolver6v33100L11gemm_kernelIdldPdPKS2_S2_EEvT0_S5_S5_T1_bT2_lS5_S5_lbT3_lS5_S5_lS6_T4_lS5_S5_l ; -- Begin function _ZN9rocsolver6v33100L11gemm_kernelIdldPdPKS2_S2_EEvT0_S5_S5_T1_bT2_lS5_S5_lbT3_lS5_S5_lS6_T4_lS5_S5_l
	.p2align	8
	.type	_ZN9rocsolver6v33100L11gemm_kernelIdldPdPKS2_S2_EEvT0_S5_S5_T1_bT2_lS5_S5_lbT3_lS5_S5_lS6_T4_lS5_S5_l,@function
_ZN9rocsolver6v33100L11gemm_kernelIdldPdPKS2_S2_EEvT0_S5_S5_T1_bT2_lS5_S5_lbT3_lS5_S5_lS6_T4_lS5_S5_l: ; @_ZN9rocsolver6v33100L11gemm_kernelIdldPdPKS2_S2_EEvT0_S5_S5_T1_bT2_lS5_S5_lbT3_lS5_S5_lS6_T4_lS5_S5_l
; %bb.0:
	s_load_dword s0, s[4:5], 0xbc
	s_load_dwordx8 s[12:19], s[4:5], 0x0
	v_mov_b32_e32 v2, v0
	v_mov_b32_e32 v3, 0
	;; [unrolled: 1-line block ×3, first 2 shown]
	s_waitcnt lgkmcnt(0)
	s_lshr_b32 s2, s0, 16
	s_and_b32 s0, s0, 0xffff
	v_mad_u64_u32 v[4:5], s[0:1], s0, v0, v[2:3]
	v_mov_b32_e32 v2, v3
	v_mov_b32_e32 v0, s7
	v_mad_u64_u32 v[0:1], s[0:1], s2, v0, v[1:2]
	v_cmp_gt_i64_e32 vcc, s[12:13], v[4:5]
	v_cmp_gt_i64_e64 s[0:1], s[14:15], v[0:1]
	s_and_b64 s[0:1], vcc, s[0:1]
	s_and_saveexec_b64 s[2:3], s[0:1]
	s_cbranch_execz .LBB61_6
; %bb.1:
	v_cmp_lt_i64_e64 s[0:1], s[16:17], 1
	s_mov_b32 s9, 0
	s_and_b64 vcc, exec, s[0:1]
	s_cbranch_vccnz .LBB61_4
; %bb.2:
	s_load_dwordx8 s[20:27], s[4:5], 0x58
	s_load_dwordx2 s[0:1], s[4:5], 0x48
	s_load_dwordx8 s[36:43], s[4:5], 0x28
	s_lshl_b64 s[2:3], s[8:9], 3
	s_waitcnt lgkmcnt(0)
	s_add_u32 s2, s20, s2
	s_mul_i32 s1, s1, s8
	s_mul_hi_u32 s6, s0, s8
	s_addc_u32 s3, s21, s3
	s_add_i32 s1, s6, s1
	s_mul_i32 s0, s0, s8
	s_lshl_b64 s[0:1], s[0:1], 3
	s_load_dwordx2 s[2:3], s[2:3], 0x0
	s_add_u32 s6, s36, s0
	s_addc_u32 s7, s37, s1
	s_lshl_b64 s[0:1], s[38:39], 3
	s_add_u32 s6, s6, s0
	s_addc_u32 s7, s7, s1
	v_mul_lo_u32 v6, v5, s40
	v_mul_lo_u32 v7, v4, s41
	v_mad_u64_u32 v[2:3], s[0:1], v4, s40, 0
	s_lshl_b64 s[0:1], s[22:23], 3
	s_waitcnt lgkmcnt(0)
	s_add_u32 s2, s2, s0
	s_addc_u32 s3, s3, s1
	v_mul_lo_u32 v10, v1, s26
	v_mul_lo_u32 v11, v0, s27
	v_mad_u64_u32 v[8:9], s[0:1], v0, s26, 0
	v_add3_u32 v3, v3, v7, v6
	v_lshlrev_b64 v[2:3], 3, v[2:3]
	v_mov_b32_e32 v7, s7
	v_add_co_u32_e32 v6, vcc, s6, v2
	v_add3_u32 v9, v9, v11, v10
	v_addc_co_u32_e32 v7, vcc, v7, v3, vcc
	v_lshlrev_b64 v[2:3], 3, v[8:9]
	v_mov_b32_e32 v9, s3
	v_add_co_u32_e32 v8, vcc, s2, v2
	v_addc_co_u32_e32 v9, vcc, v9, v3, vcc
	s_lshl_b64 s[0:1], s[24:25], 3
	s_lshl_b64 s[2:3], s[42:43], 3
	v_mov_b32_e32 v2, 0
	v_mov_b32_e32 v3, 0
	;; [unrolled: 1-line block ×4, first 2 shown]
.LBB61_3:                               ; =>This Inner Loop Header: Depth=1
	global_load_dwordx2 v[12:13], v[6:7], off
	flat_load_dwordx2 v[14:15], v[8:9]
	v_add_co_u32_e32 v8, vcc, s0, v8
	v_addc_co_u32_e32 v9, vcc, v9, v10, vcc
	s_add_u32 s16, s16, -1
	v_add_co_u32_e32 v6, vcc, s2, v6
	s_addc_u32 s17, s17, -1
	s_cmp_eq_u64 s[16:17], 0
	v_addc_co_u32_e32 v7, vcc, v7, v11, vcc
	s_waitcnt vmcnt(0) lgkmcnt(0)
	v_fma_f64 v[2:3], v[12:13], v[14:15], v[2:3]
	s_cbranch_scc0 .LBB61_3
	s_branch .LBB61_5
.LBB61_4:
	v_mov_b32_e32 v2, 0
	v_mov_b32_e32 v3, 0
.LBB61_5:
	s_load_dwordx4 s[0:3], s[4:5], 0xa0
	s_load_dwordx8 s[20:27], s[4:5], 0x80
	s_waitcnt lgkmcnt(0)
	s_mul_i32 s3, s3, s8
	s_mul_hi_u32 s4, s2, s8
	s_add_i32 s3, s4, s3
	v_mul_lo_u32 v6, v5, s26
	v_mul_lo_u32 v7, v4, s27
	v_mad_u64_u32 v[4:5], s[4:5], v4, s26, 0
	s_mul_i32 s2, s2, s8
	s_lshl_b64 s[2:3], s[2:3], 3
	v_mul_lo_u32 v8, v1, s0
	v_mul_lo_u32 v9, v0, s1
	v_mad_u64_u32 v[0:1], s[0:1], v0, s0, 0
	s_add_u32 s6, s22, s2
	s_addc_u32 s7, s23, s3
	s_lshl_b64 s[2:3], s[24:25], 3
	v_add3_u32 v5, v5, v7, v6
	s_add_u32 s0, s6, s2
	v_lshlrev_b64 v[4:5], 3, v[4:5]
	s_addc_u32 s1, s7, s3
	v_add3_u32 v1, v1, v9, v8
	v_mov_b32_e32 v6, s1
	v_add_co_u32_e32 v4, vcc, s0, v4
	v_lshlrev_b64 v[0:1], 3, v[0:1]
	v_addc_co_u32_e32 v5, vcc, v6, v5, vcc
	v_add_co_u32_e32 v0, vcc, v4, v0
	v_addc_co_u32_e32 v1, vcc, v5, v1, vcc
	global_load_dwordx2 v[4:5], v[0:1], off
	s_waitcnt vmcnt(0)
	v_mul_f64 v[4:5], s[20:21], v[4:5]
	v_fma_f64 v[2:3], s[18:19], v[2:3], v[4:5]
	global_store_dwordx2 v[0:1], v[2:3], off
.LBB61_6:
	s_endpgm
	.section	.rodata,"a",@progbits
	.p2align	6, 0x0
	.amdhsa_kernel _ZN9rocsolver6v33100L11gemm_kernelIdldPdPKS2_S2_EEvT0_S5_S5_T1_bT2_lS5_S5_lbT3_lS5_S5_lS6_T4_lS5_S5_l
		.amdhsa_group_segment_fixed_size 0
		.amdhsa_private_segment_fixed_size 0
		.amdhsa_kernarg_size 432
		.amdhsa_user_sgpr_count 6
		.amdhsa_user_sgpr_private_segment_buffer 1
		.amdhsa_user_sgpr_dispatch_ptr 0
		.amdhsa_user_sgpr_queue_ptr 0
		.amdhsa_user_sgpr_kernarg_segment_ptr 1
		.amdhsa_user_sgpr_dispatch_id 0
		.amdhsa_user_sgpr_flat_scratch_init 0
		.amdhsa_user_sgpr_private_segment_size 0
		.amdhsa_uses_dynamic_stack 0
		.amdhsa_system_sgpr_private_segment_wavefront_offset 0
		.amdhsa_system_sgpr_workgroup_id_x 1
		.amdhsa_system_sgpr_workgroup_id_y 1
		.amdhsa_system_sgpr_workgroup_id_z 1
		.amdhsa_system_sgpr_workgroup_info 0
		.amdhsa_system_vgpr_workitem_id 1
		.amdhsa_next_free_vgpr 16
		.amdhsa_next_free_sgpr 44
		.amdhsa_reserve_vcc 1
		.amdhsa_reserve_flat_scratch 0
		.amdhsa_float_round_mode_32 0
		.amdhsa_float_round_mode_16_64 0
		.amdhsa_float_denorm_mode_32 3
		.amdhsa_float_denorm_mode_16_64 3
		.amdhsa_dx10_clamp 1
		.amdhsa_ieee_mode 1
		.amdhsa_fp16_overflow 0
		.amdhsa_exception_fp_ieee_invalid_op 0
		.amdhsa_exception_fp_denorm_src 0
		.amdhsa_exception_fp_ieee_div_zero 0
		.amdhsa_exception_fp_ieee_overflow 0
		.amdhsa_exception_fp_ieee_underflow 0
		.amdhsa_exception_fp_ieee_inexact 0
		.amdhsa_exception_int_div_zero 0
	.end_amdhsa_kernel
	.section	.text._ZN9rocsolver6v33100L11gemm_kernelIdldPdPKS2_S2_EEvT0_S5_S5_T1_bT2_lS5_S5_lbT3_lS5_S5_lS6_T4_lS5_S5_l,"axG",@progbits,_ZN9rocsolver6v33100L11gemm_kernelIdldPdPKS2_S2_EEvT0_S5_S5_T1_bT2_lS5_S5_lbT3_lS5_S5_lS6_T4_lS5_S5_l,comdat
.Lfunc_end61:
	.size	_ZN9rocsolver6v33100L11gemm_kernelIdldPdPKS2_S2_EEvT0_S5_S5_T1_bT2_lS5_S5_lbT3_lS5_S5_lS6_T4_lS5_S5_l, .Lfunc_end61-_ZN9rocsolver6v33100L11gemm_kernelIdldPdPKS2_S2_EEvT0_S5_S5_T1_bT2_lS5_S5_lbT3_lS5_S5_lS6_T4_lS5_S5_l
                                        ; -- End function
	.set _ZN9rocsolver6v33100L11gemm_kernelIdldPdPKS2_S2_EEvT0_S5_S5_T1_bT2_lS5_S5_lbT3_lS5_S5_lS6_T4_lS5_S5_l.num_vgpr, 16
	.set _ZN9rocsolver6v33100L11gemm_kernelIdldPdPKS2_S2_EEvT0_S5_S5_T1_bT2_lS5_S5_lbT3_lS5_S5_lS6_T4_lS5_S5_l.num_agpr, 0
	.set _ZN9rocsolver6v33100L11gemm_kernelIdldPdPKS2_S2_EEvT0_S5_S5_T1_bT2_lS5_S5_lbT3_lS5_S5_lS6_T4_lS5_S5_l.numbered_sgpr, 44
	.set _ZN9rocsolver6v33100L11gemm_kernelIdldPdPKS2_S2_EEvT0_S5_S5_T1_bT2_lS5_S5_lbT3_lS5_S5_lS6_T4_lS5_S5_l.num_named_barrier, 0
	.set _ZN9rocsolver6v33100L11gemm_kernelIdldPdPKS2_S2_EEvT0_S5_S5_T1_bT2_lS5_S5_lbT3_lS5_S5_lS6_T4_lS5_S5_l.private_seg_size, 0
	.set _ZN9rocsolver6v33100L11gemm_kernelIdldPdPKS2_S2_EEvT0_S5_S5_T1_bT2_lS5_S5_lbT3_lS5_S5_lS6_T4_lS5_S5_l.uses_vcc, 1
	.set _ZN9rocsolver6v33100L11gemm_kernelIdldPdPKS2_S2_EEvT0_S5_S5_T1_bT2_lS5_S5_lbT3_lS5_S5_lS6_T4_lS5_S5_l.uses_flat_scratch, 0
	.set _ZN9rocsolver6v33100L11gemm_kernelIdldPdPKS2_S2_EEvT0_S5_S5_T1_bT2_lS5_S5_lbT3_lS5_S5_lS6_T4_lS5_S5_l.has_dyn_sized_stack, 0
	.set _ZN9rocsolver6v33100L11gemm_kernelIdldPdPKS2_S2_EEvT0_S5_S5_T1_bT2_lS5_S5_lbT3_lS5_S5_lS6_T4_lS5_S5_l.has_recursion, 0
	.set _ZN9rocsolver6v33100L11gemm_kernelIdldPdPKS2_S2_EEvT0_S5_S5_T1_bT2_lS5_S5_lbT3_lS5_S5_lS6_T4_lS5_S5_l.has_indirect_call, 0
	.section	.AMDGPU.csdata,"",@progbits
; Kernel info:
; codeLenInByte = 616
; TotalNumSgprs: 48
; NumVgprs: 16
; ScratchSize: 0
; MemoryBound: 0
; FloatMode: 240
; IeeeMode: 1
; LDSByteSize: 0 bytes/workgroup (compile time only)
; SGPRBlocks: 5
; VGPRBlocks: 3
; NumSGPRsForWavesPerEU: 48
; NumVGPRsForWavesPerEU: 16
; Occupancy: 10
; WaveLimiterHint : 0
; COMPUTE_PGM_RSRC2:SCRATCH_EN: 0
; COMPUTE_PGM_RSRC2:USER_SGPR: 6
; COMPUTE_PGM_RSRC2:TRAP_HANDLER: 0
; COMPUTE_PGM_RSRC2:TGID_X_EN: 1
; COMPUTE_PGM_RSRC2:TGID_Y_EN: 1
; COMPUTE_PGM_RSRC2:TGID_Z_EN: 1
; COMPUTE_PGM_RSRC2:TIDIG_COMP_CNT: 1
	.section	.text._ZN9rocsolver6v33100L16mfma_gemm_kernelIdlPKdPdS4_PKS4_EEv18rocblas_operation_S7_T0_S8_S8_T1_T2_lS8_S8_lT3_lS8_S8_lS9_T4_lS8_S8_l,"axG",@progbits,_ZN9rocsolver6v33100L16mfma_gemm_kernelIdlPKdPdS4_PKS4_EEv18rocblas_operation_S7_T0_S8_S8_T1_T2_lS8_S8_lT3_lS8_S8_lS9_T4_lS8_S8_l,comdat
	.globl	_ZN9rocsolver6v33100L16mfma_gemm_kernelIdlPKdPdS4_PKS4_EEv18rocblas_operation_S7_T0_S8_S8_T1_T2_lS8_S8_lT3_lS8_S8_lS9_T4_lS8_S8_l ; -- Begin function _ZN9rocsolver6v33100L16mfma_gemm_kernelIdlPKdPdS4_PKS4_EEv18rocblas_operation_S7_T0_S8_S8_T1_T2_lS8_S8_lT3_lS8_S8_lS9_T4_lS8_S8_l
	.p2align	8
	.type	_ZN9rocsolver6v33100L16mfma_gemm_kernelIdlPKdPdS4_PKS4_EEv18rocblas_operation_S7_T0_S8_S8_T1_T2_lS8_S8_lT3_lS8_S8_lS9_T4_lS8_S8_l,@function
_ZN9rocsolver6v33100L16mfma_gemm_kernelIdlPKdPdS4_PKS4_EEv18rocblas_operation_S7_T0_S8_S8_T1_T2_lS8_S8_lT3_lS8_S8_lS9_T4_lS8_S8_l: ; @_ZN9rocsolver6v33100L16mfma_gemm_kernelIdlPKdPdS4_PKS4_EEv18rocblas_operation_S7_T0_S8_S8_T1_T2_lS8_S8_lT3_lS8_S8_lS9_T4_lS8_S8_l
; %bb.0:
	s_endpgm
	.section	.rodata,"a",@progbits
	.p2align	6, 0x0
	.amdhsa_kernel _ZN9rocsolver6v33100L16mfma_gemm_kernelIdlPKdPdS4_PKS4_EEv18rocblas_operation_S7_T0_S8_S8_T1_T2_lS8_S8_lT3_lS8_S8_lS9_T4_lS8_S8_l
		.amdhsa_group_segment_fixed_size 0
		.amdhsa_private_segment_fixed_size 0
		.amdhsa_kernarg_size 168
		.amdhsa_user_sgpr_count 6
		.amdhsa_user_sgpr_private_segment_buffer 1
		.amdhsa_user_sgpr_dispatch_ptr 0
		.amdhsa_user_sgpr_queue_ptr 0
		.amdhsa_user_sgpr_kernarg_segment_ptr 1
		.amdhsa_user_sgpr_dispatch_id 0
		.amdhsa_user_sgpr_flat_scratch_init 0
		.amdhsa_user_sgpr_private_segment_size 0
		.amdhsa_uses_dynamic_stack 0
		.amdhsa_system_sgpr_private_segment_wavefront_offset 0
		.amdhsa_system_sgpr_workgroup_id_x 1
		.amdhsa_system_sgpr_workgroup_id_y 0
		.amdhsa_system_sgpr_workgroup_id_z 0
		.amdhsa_system_sgpr_workgroup_info 0
		.amdhsa_system_vgpr_workitem_id 0
		.amdhsa_next_free_vgpr 1
		.amdhsa_next_free_sgpr 0
		.amdhsa_reserve_vcc 0
		.amdhsa_reserve_flat_scratch 0
		.amdhsa_float_round_mode_32 0
		.amdhsa_float_round_mode_16_64 0
		.amdhsa_float_denorm_mode_32 3
		.amdhsa_float_denorm_mode_16_64 3
		.amdhsa_dx10_clamp 1
		.amdhsa_ieee_mode 1
		.amdhsa_fp16_overflow 0
		.amdhsa_exception_fp_ieee_invalid_op 0
		.amdhsa_exception_fp_denorm_src 0
		.amdhsa_exception_fp_ieee_div_zero 0
		.amdhsa_exception_fp_ieee_overflow 0
		.amdhsa_exception_fp_ieee_underflow 0
		.amdhsa_exception_fp_ieee_inexact 0
		.amdhsa_exception_int_div_zero 0
	.end_amdhsa_kernel
	.section	.text._ZN9rocsolver6v33100L16mfma_gemm_kernelIdlPKdPdS4_PKS4_EEv18rocblas_operation_S7_T0_S8_S8_T1_T2_lS8_S8_lT3_lS8_S8_lS9_T4_lS8_S8_l,"axG",@progbits,_ZN9rocsolver6v33100L16mfma_gemm_kernelIdlPKdPdS4_PKS4_EEv18rocblas_operation_S7_T0_S8_S8_T1_T2_lS8_S8_lT3_lS8_S8_lS9_T4_lS8_S8_l,comdat
.Lfunc_end62:
	.size	_ZN9rocsolver6v33100L16mfma_gemm_kernelIdlPKdPdS4_PKS4_EEv18rocblas_operation_S7_T0_S8_S8_T1_T2_lS8_S8_lT3_lS8_S8_lS9_T4_lS8_S8_l, .Lfunc_end62-_ZN9rocsolver6v33100L16mfma_gemm_kernelIdlPKdPdS4_PKS4_EEv18rocblas_operation_S7_T0_S8_S8_T1_T2_lS8_S8_lT3_lS8_S8_lS9_T4_lS8_S8_l
                                        ; -- End function
	.set _ZN9rocsolver6v33100L16mfma_gemm_kernelIdlPKdPdS4_PKS4_EEv18rocblas_operation_S7_T0_S8_S8_T1_T2_lS8_S8_lT3_lS8_S8_lS9_T4_lS8_S8_l.num_vgpr, 0
	.set _ZN9rocsolver6v33100L16mfma_gemm_kernelIdlPKdPdS4_PKS4_EEv18rocblas_operation_S7_T0_S8_S8_T1_T2_lS8_S8_lT3_lS8_S8_lS9_T4_lS8_S8_l.num_agpr, 0
	.set _ZN9rocsolver6v33100L16mfma_gemm_kernelIdlPKdPdS4_PKS4_EEv18rocblas_operation_S7_T0_S8_S8_T1_T2_lS8_S8_lT3_lS8_S8_lS9_T4_lS8_S8_l.numbered_sgpr, 0
	.set _ZN9rocsolver6v33100L16mfma_gemm_kernelIdlPKdPdS4_PKS4_EEv18rocblas_operation_S7_T0_S8_S8_T1_T2_lS8_S8_lT3_lS8_S8_lS9_T4_lS8_S8_l.num_named_barrier, 0
	.set _ZN9rocsolver6v33100L16mfma_gemm_kernelIdlPKdPdS4_PKS4_EEv18rocblas_operation_S7_T0_S8_S8_T1_T2_lS8_S8_lT3_lS8_S8_lS9_T4_lS8_S8_l.private_seg_size, 0
	.set _ZN9rocsolver6v33100L16mfma_gemm_kernelIdlPKdPdS4_PKS4_EEv18rocblas_operation_S7_T0_S8_S8_T1_T2_lS8_S8_lT3_lS8_S8_lS9_T4_lS8_S8_l.uses_vcc, 0
	.set _ZN9rocsolver6v33100L16mfma_gemm_kernelIdlPKdPdS4_PKS4_EEv18rocblas_operation_S7_T0_S8_S8_T1_T2_lS8_S8_lT3_lS8_S8_lS9_T4_lS8_S8_l.uses_flat_scratch, 0
	.set _ZN9rocsolver6v33100L16mfma_gemm_kernelIdlPKdPdS4_PKS4_EEv18rocblas_operation_S7_T0_S8_S8_T1_T2_lS8_S8_lT3_lS8_S8_lS9_T4_lS8_S8_l.has_dyn_sized_stack, 0
	.set _ZN9rocsolver6v33100L16mfma_gemm_kernelIdlPKdPdS4_PKS4_EEv18rocblas_operation_S7_T0_S8_S8_T1_T2_lS8_S8_lT3_lS8_S8_lS9_T4_lS8_S8_l.has_recursion, 0
	.set _ZN9rocsolver6v33100L16mfma_gemm_kernelIdlPKdPdS4_PKS4_EEv18rocblas_operation_S7_T0_S8_S8_T1_T2_lS8_S8_lT3_lS8_S8_lS9_T4_lS8_S8_l.has_indirect_call, 0
	.section	.AMDGPU.csdata,"",@progbits
; Kernel info:
; codeLenInByte = 4
; TotalNumSgprs: 4
; NumVgprs: 0
; ScratchSize: 0
; MemoryBound: 0
; FloatMode: 240
; IeeeMode: 1
; LDSByteSize: 0 bytes/workgroup (compile time only)
; SGPRBlocks: 0
; VGPRBlocks: 0
; NumSGPRsForWavesPerEU: 4
; NumVGPRsForWavesPerEU: 1
; Occupancy: 10
; WaveLimiterHint : 0
; COMPUTE_PGM_RSRC2:SCRATCH_EN: 0
; COMPUTE_PGM_RSRC2:USER_SGPR: 6
; COMPUTE_PGM_RSRC2:TRAP_HANDLER: 0
; COMPUTE_PGM_RSRC2:TGID_X_EN: 1
; COMPUTE_PGM_RSRC2:TGID_Y_EN: 0
; COMPUTE_PGM_RSRC2:TGID_Z_EN: 0
; COMPUTE_PGM_RSRC2:TIDIG_COMP_CNT: 0
	.section	.text._ZN9rocsolver6v33100L16mfma_gemm_kernelIdldPdS2_PKS2_EEv18rocblas_operation_S5_T0_S6_S6_T1_T2_lS6_S6_lT3_lS6_S6_lS7_T4_lS6_S6_l,"axG",@progbits,_ZN9rocsolver6v33100L16mfma_gemm_kernelIdldPdS2_PKS2_EEv18rocblas_operation_S5_T0_S6_S6_T1_T2_lS6_S6_lT3_lS6_S6_lS7_T4_lS6_S6_l,comdat
	.globl	_ZN9rocsolver6v33100L16mfma_gemm_kernelIdldPdS2_PKS2_EEv18rocblas_operation_S5_T0_S6_S6_T1_T2_lS6_S6_lT3_lS6_S6_lS7_T4_lS6_S6_l ; -- Begin function _ZN9rocsolver6v33100L16mfma_gemm_kernelIdldPdS2_PKS2_EEv18rocblas_operation_S5_T0_S6_S6_T1_T2_lS6_S6_lT3_lS6_S6_lS7_T4_lS6_S6_l
	.p2align	8
	.type	_ZN9rocsolver6v33100L16mfma_gemm_kernelIdldPdS2_PKS2_EEv18rocblas_operation_S5_T0_S6_S6_T1_T2_lS6_S6_lT3_lS6_S6_lS7_T4_lS6_S6_l,@function
_ZN9rocsolver6v33100L16mfma_gemm_kernelIdldPdS2_PKS2_EEv18rocblas_operation_S5_T0_S6_S6_T1_T2_lS6_S6_lT3_lS6_S6_lS7_T4_lS6_S6_l: ; @_ZN9rocsolver6v33100L16mfma_gemm_kernelIdldPdS2_PKS2_EEv18rocblas_operation_S5_T0_S6_S6_T1_T2_lS6_S6_lT3_lS6_S6_lS7_T4_lS6_S6_l
; %bb.0:
	s_endpgm
	.section	.rodata,"a",@progbits
	.p2align	6, 0x0
	.amdhsa_kernel _ZN9rocsolver6v33100L16mfma_gemm_kernelIdldPdS2_PKS2_EEv18rocblas_operation_S5_T0_S6_S6_T1_T2_lS6_S6_lT3_lS6_S6_lS7_T4_lS6_S6_l
		.amdhsa_group_segment_fixed_size 0
		.amdhsa_private_segment_fixed_size 0
		.amdhsa_kernarg_size 168
		.amdhsa_user_sgpr_count 6
		.amdhsa_user_sgpr_private_segment_buffer 1
		.amdhsa_user_sgpr_dispatch_ptr 0
		.amdhsa_user_sgpr_queue_ptr 0
		.amdhsa_user_sgpr_kernarg_segment_ptr 1
		.amdhsa_user_sgpr_dispatch_id 0
		.amdhsa_user_sgpr_flat_scratch_init 0
		.amdhsa_user_sgpr_private_segment_size 0
		.amdhsa_uses_dynamic_stack 0
		.amdhsa_system_sgpr_private_segment_wavefront_offset 0
		.amdhsa_system_sgpr_workgroup_id_x 1
		.amdhsa_system_sgpr_workgroup_id_y 0
		.amdhsa_system_sgpr_workgroup_id_z 0
		.amdhsa_system_sgpr_workgroup_info 0
		.amdhsa_system_vgpr_workitem_id 0
		.amdhsa_next_free_vgpr 1
		.amdhsa_next_free_sgpr 0
		.amdhsa_reserve_vcc 0
		.amdhsa_reserve_flat_scratch 0
		.amdhsa_float_round_mode_32 0
		.amdhsa_float_round_mode_16_64 0
		.amdhsa_float_denorm_mode_32 3
		.amdhsa_float_denorm_mode_16_64 3
		.amdhsa_dx10_clamp 1
		.amdhsa_ieee_mode 1
		.amdhsa_fp16_overflow 0
		.amdhsa_exception_fp_ieee_invalid_op 0
		.amdhsa_exception_fp_denorm_src 0
		.amdhsa_exception_fp_ieee_div_zero 0
		.amdhsa_exception_fp_ieee_overflow 0
		.amdhsa_exception_fp_ieee_underflow 0
		.amdhsa_exception_fp_ieee_inexact 0
		.amdhsa_exception_int_div_zero 0
	.end_amdhsa_kernel
	.section	.text._ZN9rocsolver6v33100L16mfma_gemm_kernelIdldPdS2_PKS2_EEv18rocblas_operation_S5_T0_S6_S6_T1_T2_lS6_S6_lT3_lS6_S6_lS7_T4_lS6_S6_l,"axG",@progbits,_ZN9rocsolver6v33100L16mfma_gemm_kernelIdldPdS2_PKS2_EEv18rocblas_operation_S5_T0_S6_S6_T1_T2_lS6_S6_lT3_lS6_S6_lS7_T4_lS6_S6_l,comdat
.Lfunc_end63:
	.size	_ZN9rocsolver6v33100L16mfma_gemm_kernelIdldPdS2_PKS2_EEv18rocblas_operation_S5_T0_S6_S6_T1_T2_lS6_S6_lT3_lS6_S6_lS7_T4_lS6_S6_l, .Lfunc_end63-_ZN9rocsolver6v33100L16mfma_gemm_kernelIdldPdS2_PKS2_EEv18rocblas_operation_S5_T0_S6_S6_T1_T2_lS6_S6_lT3_lS6_S6_lS7_T4_lS6_S6_l
                                        ; -- End function
	.set _ZN9rocsolver6v33100L16mfma_gemm_kernelIdldPdS2_PKS2_EEv18rocblas_operation_S5_T0_S6_S6_T1_T2_lS6_S6_lT3_lS6_S6_lS7_T4_lS6_S6_l.num_vgpr, 0
	.set _ZN9rocsolver6v33100L16mfma_gemm_kernelIdldPdS2_PKS2_EEv18rocblas_operation_S5_T0_S6_S6_T1_T2_lS6_S6_lT3_lS6_S6_lS7_T4_lS6_S6_l.num_agpr, 0
	.set _ZN9rocsolver6v33100L16mfma_gemm_kernelIdldPdS2_PKS2_EEv18rocblas_operation_S5_T0_S6_S6_T1_T2_lS6_S6_lT3_lS6_S6_lS7_T4_lS6_S6_l.numbered_sgpr, 0
	.set _ZN9rocsolver6v33100L16mfma_gemm_kernelIdldPdS2_PKS2_EEv18rocblas_operation_S5_T0_S6_S6_T1_T2_lS6_S6_lT3_lS6_S6_lS7_T4_lS6_S6_l.num_named_barrier, 0
	.set _ZN9rocsolver6v33100L16mfma_gemm_kernelIdldPdS2_PKS2_EEv18rocblas_operation_S5_T0_S6_S6_T1_T2_lS6_S6_lT3_lS6_S6_lS7_T4_lS6_S6_l.private_seg_size, 0
	.set _ZN9rocsolver6v33100L16mfma_gemm_kernelIdldPdS2_PKS2_EEv18rocblas_operation_S5_T0_S6_S6_T1_T2_lS6_S6_lT3_lS6_S6_lS7_T4_lS6_S6_l.uses_vcc, 0
	.set _ZN9rocsolver6v33100L16mfma_gemm_kernelIdldPdS2_PKS2_EEv18rocblas_operation_S5_T0_S6_S6_T1_T2_lS6_S6_lT3_lS6_S6_lS7_T4_lS6_S6_l.uses_flat_scratch, 0
	.set _ZN9rocsolver6v33100L16mfma_gemm_kernelIdldPdS2_PKS2_EEv18rocblas_operation_S5_T0_S6_S6_T1_T2_lS6_S6_lT3_lS6_S6_lS7_T4_lS6_S6_l.has_dyn_sized_stack, 0
	.set _ZN9rocsolver6v33100L16mfma_gemm_kernelIdldPdS2_PKS2_EEv18rocblas_operation_S5_T0_S6_S6_T1_T2_lS6_S6_lT3_lS6_S6_lS7_T4_lS6_S6_l.has_recursion, 0
	.set _ZN9rocsolver6v33100L16mfma_gemm_kernelIdldPdS2_PKS2_EEv18rocblas_operation_S5_T0_S6_S6_T1_T2_lS6_S6_lT3_lS6_S6_lS7_T4_lS6_S6_l.has_indirect_call, 0
	.section	.AMDGPU.csdata,"",@progbits
; Kernel info:
; codeLenInByte = 4
; TotalNumSgprs: 4
; NumVgprs: 0
; ScratchSize: 0
; MemoryBound: 0
; FloatMode: 240
; IeeeMode: 1
; LDSByteSize: 0 bytes/workgroup (compile time only)
; SGPRBlocks: 0
; VGPRBlocks: 0
; NumSGPRsForWavesPerEU: 4
; NumVGPRsForWavesPerEU: 1
; Occupancy: 10
; WaveLimiterHint : 0
; COMPUTE_PGM_RSRC2:SCRATCH_EN: 0
; COMPUTE_PGM_RSRC2:USER_SGPR: 6
; COMPUTE_PGM_RSRC2:TRAP_HANDLER: 0
; COMPUTE_PGM_RSRC2:TGID_X_EN: 1
; COMPUTE_PGM_RSRC2:TGID_Y_EN: 0
; COMPUTE_PGM_RSRC2:TGID_Z_EN: 0
; COMPUTE_PGM_RSRC2:TIDIG_COMP_CNT: 0
	.section	.text._ZN9rocsolver6v33100L11gemm_kernelIdlPKdPdS4_PKS4_EEvT0_S7_S7_T1_bT2_lS7_S7_lbT3_lS7_S7_lS8_T4_lS7_S7_l,"axG",@progbits,_ZN9rocsolver6v33100L11gemm_kernelIdlPKdPdS4_PKS4_EEvT0_S7_S7_T1_bT2_lS7_S7_lbT3_lS7_S7_lS8_T4_lS7_S7_l,comdat
	.globl	_ZN9rocsolver6v33100L11gemm_kernelIdlPKdPdS4_PKS4_EEvT0_S7_S7_T1_bT2_lS7_S7_lbT3_lS7_S7_lS8_T4_lS7_S7_l ; -- Begin function _ZN9rocsolver6v33100L11gemm_kernelIdlPKdPdS4_PKS4_EEvT0_S7_S7_T1_bT2_lS7_S7_lbT3_lS7_S7_lS8_T4_lS7_S7_l
	.p2align	8
	.type	_ZN9rocsolver6v33100L11gemm_kernelIdlPKdPdS4_PKS4_EEvT0_S7_S7_T1_bT2_lS7_S7_lbT3_lS7_S7_lS8_T4_lS7_S7_l,@function
_ZN9rocsolver6v33100L11gemm_kernelIdlPKdPdS4_PKS4_EEvT0_S7_S7_T1_bT2_lS7_S7_lbT3_lS7_S7_lS8_T4_lS7_S7_l: ; @_ZN9rocsolver6v33100L11gemm_kernelIdlPKdPdS4_PKS4_EEvT0_S7_S7_T1_bT2_lS7_S7_lbT3_lS7_S7_lS8_T4_lS7_S7_l
; %bb.0:
	s_load_dword s0, s[4:5], 0xbc
	s_load_dwordx8 s[24:31], s[4:5], 0x0
	v_mov_b32_e32 v2, v0
	v_mov_b32_e32 v3, 0
	;; [unrolled: 1-line block ×3, first 2 shown]
	s_waitcnt lgkmcnt(0)
	s_lshr_b32 s2, s0, 16
	s_and_b32 s0, s0, 0xffff
	v_mad_u64_u32 v[4:5], s[0:1], s0, v0, v[2:3]
	v_mov_b32_e32 v2, v3
	v_mov_b32_e32 v0, s7
	v_mad_u64_u32 v[0:1], s[0:1], s2, v0, v[1:2]
	v_cmp_gt_i64_e32 vcc, s[24:25], v[4:5]
	v_cmp_gt_i64_e64 s[0:1], s[26:27], v[0:1]
	s_and_b64 s[0:1], vcc, s[0:1]
	s_and_saveexec_b64 s[2:3], s[0:1]
	s_cbranch_execz .LBB64_6
; %bb.1:
	s_load_dwordx16 s[12:27], s[4:5], 0x58
	s_mov_b32 s9, 0
	s_lshl_b64 s[0:1], s[8:9], 3
	v_cmp_lt_i64_e64 s[2:3], s[28:29], 1
	s_waitcnt lgkmcnt(0)
	s_add_u32 s0, s24, s0
	s_addc_u32 s1, s25, s1
	s_load_dwordx2 s[0:1], s[0:1], 0x0
	s_and_b64 vcc, exec, s[2:3]
	s_cbranch_vccnz .LBB64_4
; %bb.2:
	s_load_dwordx2 s[2:3], s[4:5], 0x48
	s_load_dwordx8 s[36:43], s[4:5], 0x28
	v_mul_lo_u32 v10, v1, s18
	v_mul_lo_u32 v11, v0, s19
	s_waitcnt lgkmcnt(0)
	s_mul_i32 s3, s3, s8
	s_mul_hi_u32 s6, s2, s8
	s_mul_i32 s2, s2, s8
	s_add_i32 s3, s6, s3
	s_lshl_b64 s[2:3], s[2:3], 3
	s_add_u32 s6, s36, s2
	s_addc_u32 s7, s37, s3
	s_lshl_b64 s[2:3], s[38:39], 3
	s_add_u32 s6, s6, s2
	s_addc_u32 s7, s7, s3
	s_mul_i32 s2, s21, s8
	s_mul_hi_u32 s3, s20, s8
	s_add_i32 s3, s3, s2
	s_mul_i32 s2, s20, s8
	s_lshl_b64 s[2:3], s[2:3], 3
	s_add_u32 s8, s12, s2
	s_addc_u32 s9, s13, s3
	v_mul_lo_u32 v6, v5, s40
	v_mul_lo_u32 v7, v4, s41
	v_mad_u64_u32 v[2:3], s[2:3], v4, s40, 0
	s_lshl_b64 s[2:3], s[14:15], 3
	s_add_u32 s8, s8, s2
	s_addc_u32 s9, s9, s3
	v_mad_u64_u32 v[8:9], s[2:3], v0, s18, 0
	v_add3_u32 v3, v3, v7, v6
	v_lshlrev_b64 v[2:3], 3, v[2:3]
	v_mov_b32_e32 v7, s7
	v_add_co_u32_e32 v6, vcc, s6, v2
	v_add3_u32 v9, v9, v11, v10
	v_addc_co_u32_e32 v7, vcc, v7, v3, vcc
	v_lshlrev_b64 v[2:3], 3, v[8:9]
	v_mov_b32_e32 v9, s9
	v_add_co_u32_e32 v8, vcc, s8, v2
	v_addc_co_u32_e32 v9, vcc, v9, v3, vcc
	s_lshl_b64 s[2:3], s[16:17], 3
	s_lshl_b64 s[6:7], s[42:43], 3
	v_mov_b32_e32 v2, 0
	v_mov_b32_e32 v3, 0
	;; [unrolled: 1-line block ×4, first 2 shown]
.LBB64_3:                               ; =>This Inner Loop Header: Depth=1
	global_load_dwordx2 v[12:13], v[6:7], off
	global_load_dwordx2 v[14:15], v[8:9], off
	v_add_co_u32_e32 v8, vcc, s2, v8
	v_addc_co_u32_e32 v9, vcc, v9, v10, vcc
	s_add_u32 s28, s28, -1
	v_add_co_u32_e32 v6, vcc, s6, v6
	s_addc_u32 s29, s29, -1
	s_cmp_eq_u64 s[28:29], 0
	v_addc_co_u32_e32 v7, vcc, v7, v11, vcc
	s_waitcnt vmcnt(0)
	v_fma_f64 v[2:3], v[12:13], v[14:15], v[2:3]
	s_cbranch_scc0 .LBB64_3
	s_branch .LBB64_5
.LBB64_4:
	v_mov_b32_e32 v2, 0
	v_mov_b32_e32 v3, 0
.LBB64_5:
	s_load_dwordx2 s[2:3], s[30:31], 0x0
	s_load_dwordx2 s[6:7], s[22:23], 0x0
                                        ; kill: killed $sgpr22_sgpr23
                                        ; kill: killed $sgpr30_sgpr31
	s_load_dwordx4 s[8:11], s[4:5], 0x98
	s_lshl_b64 s[4:5], s[26:27], 3
	s_waitcnt lgkmcnt(0)
	s_add_u32 s0, s0, s4
	s_addc_u32 s1, s1, s5
	v_mul_lo_u32 v6, v5, s8
	v_mul_lo_u32 v7, v4, s9
	v_mad_u64_u32 v[4:5], s[8:9], v4, s8, 0
	v_mul_lo_u32 v8, v1, s10
	v_mul_lo_u32 v9, v0, s11
	v_mad_u64_u32 v[0:1], s[8:9], v0, s10, 0
	v_add3_u32 v5, v5, v7, v6
	v_lshlrev_b64 v[4:5], 3, v[4:5]
	v_add3_u32 v1, v1, v9, v8
	v_mov_b32_e32 v6, s1
	v_add_co_u32_e32 v4, vcc, s0, v4
	v_lshlrev_b64 v[0:1], 3, v[0:1]
	v_addc_co_u32_e32 v5, vcc, v6, v5, vcc
	v_add_co_u32_e32 v0, vcc, v4, v0
	v_addc_co_u32_e32 v1, vcc, v5, v1, vcc
	flat_load_dwordx2 v[4:5], v[0:1]
	s_waitcnt vmcnt(0) lgkmcnt(0)
	v_mul_f64 v[4:5], s[6:7], v[4:5]
	v_fma_f64 v[2:3], s[2:3], v[2:3], v[4:5]
	flat_store_dwordx2 v[0:1], v[2:3]
.LBB64_6:
	s_endpgm
	.section	.rodata,"a",@progbits
	.p2align	6, 0x0
	.amdhsa_kernel _ZN9rocsolver6v33100L11gemm_kernelIdlPKdPdS4_PKS4_EEvT0_S7_S7_T1_bT2_lS7_S7_lbT3_lS7_S7_lS8_T4_lS7_S7_l
		.amdhsa_group_segment_fixed_size 0
		.amdhsa_private_segment_fixed_size 0
		.amdhsa_kernarg_size 432
		.amdhsa_user_sgpr_count 6
		.amdhsa_user_sgpr_private_segment_buffer 1
		.amdhsa_user_sgpr_dispatch_ptr 0
		.amdhsa_user_sgpr_queue_ptr 0
		.amdhsa_user_sgpr_kernarg_segment_ptr 1
		.amdhsa_user_sgpr_dispatch_id 0
		.amdhsa_user_sgpr_flat_scratch_init 0
		.amdhsa_user_sgpr_private_segment_size 0
		.amdhsa_uses_dynamic_stack 0
		.amdhsa_system_sgpr_private_segment_wavefront_offset 0
		.amdhsa_system_sgpr_workgroup_id_x 1
		.amdhsa_system_sgpr_workgroup_id_y 1
		.amdhsa_system_sgpr_workgroup_id_z 1
		.amdhsa_system_sgpr_workgroup_info 0
		.amdhsa_system_vgpr_workitem_id 1
		.amdhsa_next_free_vgpr 16
		.amdhsa_next_free_sgpr 44
		.amdhsa_reserve_vcc 1
		.amdhsa_reserve_flat_scratch 0
		.amdhsa_float_round_mode_32 0
		.amdhsa_float_round_mode_16_64 0
		.amdhsa_float_denorm_mode_32 3
		.amdhsa_float_denorm_mode_16_64 3
		.amdhsa_dx10_clamp 1
		.amdhsa_ieee_mode 1
		.amdhsa_fp16_overflow 0
		.amdhsa_exception_fp_ieee_invalid_op 0
		.amdhsa_exception_fp_denorm_src 0
		.amdhsa_exception_fp_ieee_div_zero 0
		.amdhsa_exception_fp_ieee_overflow 0
		.amdhsa_exception_fp_ieee_underflow 0
		.amdhsa_exception_fp_ieee_inexact 0
		.amdhsa_exception_int_div_zero 0
	.end_amdhsa_kernel
	.section	.text._ZN9rocsolver6v33100L11gemm_kernelIdlPKdPdS4_PKS4_EEvT0_S7_S7_T1_bT2_lS7_S7_lbT3_lS7_S7_lS8_T4_lS7_S7_l,"axG",@progbits,_ZN9rocsolver6v33100L11gemm_kernelIdlPKdPdS4_PKS4_EEvT0_S7_S7_T1_bT2_lS7_S7_lbT3_lS7_S7_lS8_T4_lS7_S7_l,comdat
.Lfunc_end64:
	.size	_ZN9rocsolver6v33100L11gemm_kernelIdlPKdPdS4_PKS4_EEvT0_S7_S7_T1_bT2_lS7_S7_lbT3_lS7_S7_lS8_T4_lS7_S7_l, .Lfunc_end64-_ZN9rocsolver6v33100L11gemm_kernelIdlPKdPdS4_PKS4_EEvT0_S7_S7_T1_bT2_lS7_S7_lbT3_lS7_S7_lS8_T4_lS7_S7_l
                                        ; -- End function
	.set _ZN9rocsolver6v33100L11gemm_kernelIdlPKdPdS4_PKS4_EEvT0_S7_S7_T1_bT2_lS7_S7_lbT3_lS7_S7_lS8_T4_lS7_S7_l.num_vgpr, 16
	.set _ZN9rocsolver6v33100L11gemm_kernelIdlPKdPdS4_PKS4_EEvT0_S7_S7_T1_bT2_lS7_S7_lbT3_lS7_S7_lS8_T4_lS7_S7_l.num_agpr, 0
	.set _ZN9rocsolver6v33100L11gemm_kernelIdlPKdPdS4_PKS4_EEvT0_S7_S7_T1_bT2_lS7_S7_lbT3_lS7_S7_lS8_T4_lS7_S7_l.numbered_sgpr, 44
	.set _ZN9rocsolver6v33100L11gemm_kernelIdlPKdPdS4_PKS4_EEvT0_S7_S7_T1_bT2_lS7_S7_lbT3_lS7_S7_lS8_T4_lS7_S7_l.num_named_barrier, 0
	.set _ZN9rocsolver6v33100L11gemm_kernelIdlPKdPdS4_PKS4_EEvT0_S7_S7_T1_bT2_lS7_S7_lbT3_lS7_S7_lS8_T4_lS7_S7_l.private_seg_size, 0
	.set _ZN9rocsolver6v33100L11gemm_kernelIdlPKdPdS4_PKS4_EEvT0_S7_S7_T1_bT2_lS7_S7_lbT3_lS7_S7_lS8_T4_lS7_S7_l.uses_vcc, 1
	.set _ZN9rocsolver6v33100L11gemm_kernelIdlPKdPdS4_PKS4_EEvT0_S7_S7_T1_bT2_lS7_S7_lbT3_lS7_S7_lS8_T4_lS7_S7_l.uses_flat_scratch, 0
	.set _ZN9rocsolver6v33100L11gemm_kernelIdlPKdPdS4_PKS4_EEvT0_S7_S7_T1_bT2_lS7_S7_lbT3_lS7_S7_lS8_T4_lS7_S7_l.has_dyn_sized_stack, 0
	.set _ZN9rocsolver6v33100L11gemm_kernelIdlPKdPdS4_PKS4_EEvT0_S7_S7_T1_bT2_lS7_S7_lbT3_lS7_S7_lS8_T4_lS7_S7_l.has_recursion, 0
	.set _ZN9rocsolver6v33100L11gemm_kernelIdlPKdPdS4_PKS4_EEvT0_S7_S7_T1_bT2_lS7_S7_lbT3_lS7_S7_lS8_T4_lS7_S7_l.has_indirect_call, 0
	.section	.AMDGPU.csdata,"",@progbits
; Kernel info:
; codeLenInByte = 624
; TotalNumSgprs: 48
; NumVgprs: 16
; ScratchSize: 0
; MemoryBound: 0
; FloatMode: 240
; IeeeMode: 1
; LDSByteSize: 0 bytes/workgroup (compile time only)
; SGPRBlocks: 5
; VGPRBlocks: 3
; NumSGPRsForWavesPerEU: 48
; NumVGPRsForWavesPerEU: 16
; Occupancy: 10
; WaveLimiterHint : 1
; COMPUTE_PGM_RSRC2:SCRATCH_EN: 0
; COMPUTE_PGM_RSRC2:USER_SGPR: 6
; COMPUTE_PGM_RSRC2:TRAP_HANDLER: 0
; COMPUTE_PGM_RSRC2:TGID_X_EN: 1
; COMPUTE_PGM_RSRC2:TGID_Y_EN: 1
; COMPUTE_PGM_RSRC2:TGID_Z_EN: 1
; COMPUTE_PGM_RSRC2:TIDIG_COMP_CNT: 1
	.section	.text._ZN9rocsolver6v33100L11gemm_kernelIdldPdS2_PKS2_EEvT0_S5_S5_T1_bT2_lS5_S5_lbT3_lS5_S5_lS6_T4_lS5_S5_l,"axG",@progbits,_ZN9rocsolver6v33100L11gemm_kernelIdldPdS2_PKS2_EEvT0_S5_S5_T1_bT2_lS5_S5_lbT3_lS5_S5_lS6_T4_lS5_S5_l,comdat
	.globl	_ZN9rocsolver6v33100L11gemm_kernelIdldPdS2_PKS2_EEvT0_S5_S5_T1_bT2_lS5_S5_lbT3_lS5_S5_lS6_T4_lS5_S5_l ; -- Begin function _ZN9rocsolver6v33100L11gemm_kernelIdldPdS2_PKS2_EEvT0_S5_S5_T1_bT2_lS5_S5_lbT3_lS5_S5_lS6_T4_lS5_S5_l
	.p2align	8
	.type	_ZN9rocsolver6v33100L11gemm_kernelIdldPdS2_PKS2_EEvT0_S5_S5_T1_bT2_lS5_S5_lbT3_lS5_S5_lS6_T4_lS5_S5_l,@function
_ZN9rocsolver6v33100L11gemm_kernelIdldPdS2_PKS2_EEvT0_S5_S5_T1_bT2_lS5_S5_lbT3_lS5_S5_lS6_T4_lS5_S5_l: ; @_ZN9rocsolver6v33100L11gemm_kernelIdldPdS2_PKS2_EEvT0_S5_S5_T1_bT2_lS5_S5_lbT3_lS5_S5_lS6_T4_lS5_S5_l
; %bb.0:
	s_load_dword s0, s[4:5], 0xbc
	s_load_dwordx8 s[24:31], s[4:5], 0x0
	v_mov_b32_e32 v2, v0
	v_mov_b32_e32 v3, 0
	;; [unrolled: 1-line block ×3, first 2 shown]
	s_waitcnt lgkmcnt(0)
	s_lshr_b32 s2, s0, 16
	s_and_b32 s0, s0, 0xffff
	v_mad_u64_u32 v[4:5], s[0:1], s0, v0, v[2:3]
	v_mov_b32_e32 v2, v3
	v_mov_b32_e32 v0, s7
	v_mad_u64_u32 v[0:1], s[0:1], s2, v0, v[1:2]
	v_cmp_gt_i64_e32 vcc, s[24:25], v[4:5]
	v_cmp_gt_i64_e64 s[0:1], s[26:27], v[0:1]
	s_and_b64 s[0:1], vcc, s[0:1]
	s_and_saveexec_b64 s[2:3], s[0:1]
	s_cbranch_execz .LBB65_6
; %bb.1:
	s_load_dwordx16 s[12:27], s[4:5], 0x58
	s_mov_b32 s9, 0
	s_lshl_b64 s[0:1], s[8:9], 3
	v_cmp_lt_i64_e64 s[2:3], s[28:29], 1
	s_waitcnt lgkmcnt(0)
	s_add_u32 s0, s24, s0
	s_addc_u32 s1, s25, s1
	s_load_dwordx2 s[0:1], s[0:1], 0x0
	s_and_b64 vcc, exec, s[2:3]
	s_cbranch_vccnz .LBB65_4
; %bb.2:
	s_load_dwordx2 s[2:3], s[4:5], 0x48
	s_load_dwordx8 s[36:43], s[4:5], 0x28
	v_mul_lo_u32 v10, v1, s18
	v_mul_lo_u32 v11, v0, s19
	s_waitcnt lgkmcnt(0)
	s_mul_i32 s3, s3, s8
	s_mul_hi_u32 s6, s2, s8
	s_mul_i32 s2, s2, s8
	s_add_i32 s3, s6, s3
	s_lshl_b64 s[2:3], s[2:3], 3
	s_add_u32 s6, s36, s2
	s_addc_u32 s7, s37, s3
	s_lshl_b64 s[2:3], s[38:39], 3
	s_add_u32 s6, s6, s2
	s_addc_u32 s7, s7, s3
	s_mul_i32 s2, s21, s8
	s_mul_hi_u32 s3, s20, s8
	s_add_i32 s3, s3, s2
	s_mul_i32 s2, s20, s8
	s_lshl_b64 s[2:3], s[2:3], 3
	s_add_u32 s8, s12, s2
	s_addc_u32 s9, s13, s3
	v_mul_lo_u32 v6, v5, s40
	v_mul_lo_u32 v7, v4, s41
	v_mad_u64_u32 v[2:3], s[2:3], v4, s40, 0
	s_lshl_b64 s[2:3], s[14:15], 3
	s_add_u32 s8, s8, s2
	s_addc_u32 s9, s9, s3
	v_mad_u64_u32 v[8:9], s[2:3], v0, s18, 0
	v_add3_u32 v3, v3, v7, v6
	v_lshlrev_b64 v[2:3], 3, v[2:3]
	v_mov_b32_e32 v7, s7
	v_add_co_u32_e32 v6, vcc, s6, v2
	v_add3_u32 v9, v9, v11, v10
	v_addc_co_u32_e32 v7, vcc, v7, v3, vcc
	v_lshlrev_b64 v[2:3], 3, v[8:9]
	v_mov_b32_e32 v9, s9
	v_add_co_u32_e32 v8, vcc, s8, v2
	v_addc_co_u32_e32 v9, vcc, v9, v3, vcc
	s_lshl_b64 s[2:3], s[16:17], 3
	s_lshl_b64 s[6:7], s[42:43], 3
	v_mov_b32_e32 v2, 0
	v_mov_b32_e32 v3, 0
	;; [unrolled: 1-line block ×4, first 2 shown]
.LBB65_3:                               ; =>This Inner Loop Header: Depth=1
	global_load_dwordx2 v[12:13], v[6:7], off
	global_load_dwordx2 v[14:15], v[8:9], off
	v_add_co_u32_e32 v8, vcc, s2, v8
	v_addc_co_u32_e32 v9, vcc, v9, v10, vcc
	s_add_u32 s28, s28, -1
	v_add_co_u32_e32 v6, vcc, s6, v6
	s_addc_u32 s29, s29, -1
	s_cmp_eq_u64 s[28:29], 0
	v_addc_co_u32_e32 v7, vcc, v7, v11, vcc
	s_waitcnt vmcnt(0)
	v_fma_f64 v[2:3], v[12:13], v[14:15], v[2:3]
	s_cbranch_scc0 .LBB65_3
	s_branch .LBB65_5
.LBB65_4:
	v_mov_b32_e32 v2, 0
	v_mov_b32_e32 v3, 0
.LBB65_5:
	s_load_dwordx4 s[8:11], s[4:5], 0x98
	s_lshl_b64 s[2:3], s[26:27], 3
	s_waitcnt lgkmcnt(0)
	s_add_u32 s0, s0, s2
	s_addc_u32 s1, s1, s3
	v_mul_lo_u32 v6, v5, s8
	v_mul_lo_u32 v7, v4, s9
	v_mad_u64_u32 v[4:5], s[4:5], v4, s8, 0
	v_mul_lo_u32 v8, v1, s10
	v_mul_lo_u32 v9, v0, s11
	v_mad_u64_u32 v[0:1], s[4:5], v0, s10, 0
	v_add3_u32 v5, v5, v7, v6
	v_lshlrev_b64 v[4:5], 3, v[4:5]
	v_add3_u32 v1, v1, v9, v8
	v_mov_b32_e32 v6, s1
	v_add_co_u32_e32 v4, vcc, s0, v4
	v_lshlrev_b64 v[0:1], 3, v[0:1]
	v_addc_co_u32_e32 v5, vcc, v6, v5, vcc
	v_add_co_u32_e32 v0, vcc, v4, v0
	v_addc_co_u32_e32 v1, vcc, v5, v1, vcc
	flat_load_dwordx2 v[4:5], v[0:1]
	s_waitcnt vmcnt(0) lgkmcnt(0)
	v_mul_f64 v[4:5], s[22:23], v[4:5]
	v_fma_f64 v[2:3], s[30:31], v[2:3], v[4:5]
	flat_store_dwordx2 v[0:1], v[2:3]
.LBB65_6:
	s_endpgm
	.section	.rodata,"a",@progbits
	.p2align	6, 0x0
	.amdhsa_kernel _ZN9rocsolver6v33100L11gemm_kernelIdldPdS2_PKS2_EEvT0_S5_S5_T1_bT2_lS5_S5_lbT3_lS5_S5_lS6_T4_lS5_S5_l
		.amdhsa_group_segment_fixed_size 0
		.amdhsa_private_segment_fixed_size 0
		.amdhsa_kernarg_size 432
		.amdhsa_user_sgpr_count 6
		.amdhsa_user_sgpr_private_segment_buffer 1
		.amdhsa_user_sgpr_dispatch_ptr 0
		.amdhsa_user_sgpr_queue_ptr 0
		.amdhsa_user_sgpr_kernarg_segment_ptr 1
		.amdhsa_user_sgpr_dispatch_id 0
		.amdhsa_user_sgpr_flat_scratch_init 0
		.amdhsa_user_sgpr_private_segment_size 0
		.amdhsa_uses_dynamic_stack 0
		.amdhsa_system_sgpr_private_segment_wavefront_offset 0
		.amdhsa_system_sgpr_workgroup_id_x 1
		.amdhsa_system_sgpr_workgroup_id_y 1
		.amdhsa_system_sgpr_workgroup_id_z 1
		.amdhsa_system_sgpr_workgroup_info 0
		.amdhsa_system_vgpr_workitem_id 1
		.amdhsa_next_free_vgpr 16
		.amdhsa_next_free_sgpr 44
		.amdhsa_reserve_vcc 1
		.amdhsa_reserve_flat_scratch 0
		.amdhsa_float_round_mode_32 0
		.amdhsa_float_round_mode_16_64 0
		.amdhsa_float_denorm_mode_32 3
		.amdhsa_float_denorm_mode_16_64 3
		.amdhsa_dx10_clamp 1
		.amdhsa_ieee_mode 1
		.amdhsa_fp16_overflow 0
		.amdhsa_exception_fp_ieee_invalid_op 0
		.amdhsa_exception_fp_denorm_src 0
		.amdhsa_exception_fp_ieee_div_zero 0
		.amdhsa_exception_fp_ieee_overflow 0
		.amdhsa_exception_fp_ieee_underflow 0
		.amdhsa_exception_fp_ieee_inexact 0
		.amdhsa_exception_int_div_zero 0
	.end_amdhsa_kernel
	.section	.text._ZN9rocsolver6v33100L11gemm_kernelIdldPdS2_PKS2_EEvT0_S5_S5_T1_bT2_lS5_S5_lbT3_lS5_S5_lS6_T4_lS5_S5_l,"axG",@progbits,_ZN9rocsolver6v33100L11gemm_kernelIdldPdS2_PKS2_EEvT0_S5_S5_T1_bT2_lS5_S5_lbT3_lS5_S5_lS6_T4_lS5_S5_l,comdat
.Lfunc_end65:
	.size	_ZN9rocsolver6v33100L11gemm_kernelIdldPdS2_PKS2_EEvT0_S5_S5_T1_bT2_lS5_S5_lbT3_lS5_S5_lS6_T4_lS5_S5_l, .Lfunc_end65-_ZN9rocsolver6v33100L11gemm_kernelIdldPdS2_PKS2_EEvT0_S5_S5_T1_bT2_lS5_S5_lbT3_lS5_S5_lS6_T4_lS5_S5_l
                                        ; -- End function
	.set _ZN9rocsolver6v33100L11gemm_kernelIdldPdS2_PKS2_EEvT0_S5_S5_T1_bT2_lS5_S5_lbT3_lS5_S5_lS6_T4_lS5_S5_l.num_vgpr, 16
	.set _ZN9rocsolver6v33100L11gemm_kernelIdldPdS2_PKS2_EEvT0_S5_S5_T1_bT2_lS5_S5_lbT3_lS5_S5_lS6_T4_lS5_S5_l.num_agpr, 0
	.set _ZN9rocsolver6v33100L11gemm_kernelIdldPdS2_PKS2_EEvT0_S5_S5_T1_bT2_lS5_S5_lbT3_lS5_S5_lS6_T4_lS5_S5_l.numbered_sgpr, 44
	.set _ZN9rocsolver6v33100L11gemm_kernelIdldPdS2_PKS2_EEvT0_S5_S5_T1_bT2_lS5_S5_lbT3_lS5_S5_lS6_T4_lS5_S5_l.num_named_barrier, 0
	.set _ZN9rocsolver6v33100L11gemm_kernelIdldPdS2_PKS2_EEvT0_S5_S5_T1_bT2_lS5_S5_lbT3_lS5_S5_lS6_T4_lS5_S5_l.private_seg_size, 0
	.set _ZN9rocsolver6v33100L11gemm_kernelIdldPdS2_PKS2_EEvT0_S5_S5_T1_bT2_lS5_S5_lbT3_lS5_S5_lS6_T4_lS5_S5_l.uses_vcc, 1
	.set _ZN9rocsolver6v33100L11gemm_kernelIdldPdS2_PKS2_EEvT0_S5_S5_T1_bT2_lS5_S5_lbT3_lS5_S5_lS6_T4_lS5_S5_l.uses_flat_scratch, 0
	.set _ZN9rocsolver6v33100L11gemm_kernelIdldPdS2_PKS2_EEvT0_S5_S5_T1_bT2_lS5_S5_lbT3_lS5_S5_lS6_T4_lS5_S5_l.has_dyn_sized_stack, 0
	.set _ZN9rocsolver6v33100L11gemm_kernelIdldPdS2_PKS2_EEvT0_S5_S5_T1_bT2_lS5_S5_lbT3_lS5_S5_lS6_T4_lS5_S5_l.has_recursion, 0
	.set _ZN9rocsolver6v33100L11gemm_kernelIdldPdS2_PKS2_EEvT0_S5_S5_T1_bT2_lS5_S5_lbT3_lS5_S5_lS6_T4_lS5_S5_l.has_indirect_call, 0
	.section	.AMDGPU.csdata,"",@progbits
; Kernel info:
; codeLenInByte = 608
; TotalNumSgprs: 48
; NumVgprs: 16
; ScratchSize: 0
; MemoryBound: 0
; FloatMode: 240
; IeeeMode: 1
; LDSByteSize: 0 bytes/workgroup (compile time only)
; SGPRBlocks: 5
; VGPRBlocks: 3
; NumSGPRsForWavesPerEU: 48
; NumVGPRsForWavesPerEU: 16
; Occupancy: 10
; WaveLimiterHint : 1
; COMPUTE_PGM_RSRC2:SCRATCH_EN: 0
; COMPUTE_PGM_RSRC2:USER_SGPR: 6
; COMPUTE_PGM_RSRC2:TRAP_HANDLER: 0
; COMPUTE_PGM_RSRC2:TGID_X_EN: 1
; COMPUTE_PGM_RSRC2:TGID_Y_EN: 1
; COMPUTE_PGM_RSRC2:TGID_Z_EN: 1
; COMPUTE_PGM_RSRC2:TIDIG_COMP_CNT: 1
	.section	.AMDGPU.gpr_maximums,"",@progbits
	.set amdgpu.max_num_vgpr, 0
	.set amdgpu.max_num_agpr, 0
	.set amdgpu.max_num_sgpr, 0
	.section	.AMDGPU.csdata,"",@progbits
	.type	__hip_cuid_28535e75948cc6dc,@object ; @__hip_cuid_28535e75948cc6dc
	.section	.bss,"aw",@nobits
	.globl	__hip_cuid_28535e75948cc6dc
__hip_cuid_28535e75948cc6dc:
	.byte	0                               ; 0x0
	.size	__hip_cuid_28535e75948cc6dc, 1

	.ident	"AMD clang version 22.0.0git (https://github.com/RadeonOpenCompute/llvm-project roc-7.2.4 26084 f58b06dce1f9c15707c5f808fd002e18c2accf7e)"
	.section	".note.GNU-stack","",@progbits
	.addrsig
	.addrsig_sym __hip_cuid_28535e75948cc6dc
	.amdgpu_metadata
---
amdhsa.kernels:
  - .args:
      - .offset:         0
        .size:           4
        .value_kind:     by_value
      - .offset:         4
        .size:           4
        .value_kind:     by_value
      - .offset:         8
        .size:           4
        .value_kind:     by_value
      - .offset:         12
        .size:           4
        .value_kind:     by_value
      - .offset:         16
        .size:           4
        .value_kind:     by_value
      - .address_space:  global
        .offset:         24
        .size:           8
        .value_kind:     global_buffer
      - .address_space:  global
        .offset:         32
        .size:           8
        .value_kind:     global_buffer
      - .offset:         40
        .size:           8
        .value_kind:     by_value
      - .offset:         48
        .size:           4
        .value_kind:     by_value
      - .offset:         52
        .size:           4
        .value_kind:     by_value
      - .offset:         56
        .size:           8
        .value_kind:     by_value
      - .address_space:  global
        .offset:         64
        .size:           8
        .value_kind:     global_buffer
      - .offset:         72
        .size:           8
        .value_kind:     by_value
      - .offset:         80
        .size:           4
        .value_kind:     by_value
      - .offset:         84
        .size:           4
        .value_kind:     by_value
      - .offset:         88
        .size:           8
        .value_kind:     by_value
      - .address_space:  global
        .offset:         96
        .size:           8
        .value_kind:     global_buffer
      - .address_space:  global
        .offset:         104
        .size:           8
        .value_kind:     global_buffer
      - .offset:         112
        .size:           8
        .value_kind:     by_value
      - .offset:         120
        .size:           4
        .value_kind:     by_value
      - .offset:         124
        .size:           4
        .value_kind:     by_value
      - .offset:         128
        .size:           8
        .value_kind:     by_value
    .group_segment_fixed_size: 0
    .kernarg_segment_align: 8
    .kernarg_segment_size: 136
    .language:       OpenCL C
    .language_version:
      - 2
      - 0
    .max_flat_workgroup_size: 1024
    .name:           _ZN9rocsolver6v33100L16mfma_gemm_kernelIdiPKdPdS4_S4_EEv18rocblas_operation_S5_T0_S6_S6_T1_T2_lS6_S6_lT3_lS6_S6_lS7_T4_lS6_S6_l
    .private_segment_fixed_size: 0
    .sgpr_count:     4
    .sgpr_spill_count: 0
    .symbol:         _ZN9rocsolver6v33100L16mfma_gemm_kernelIdiPKdPdS4_S4_EEv18rocblas_operation_S5_T0_S6_S6_T1_T2_lS6_S6_lT3_lS6_S6_lS7_T4_lS6_S6_l.kd
    .uniform_work_group_size: 1
    .uses_dynamic_stack: false
    .vgpr_count:     0
    .vgpr_spill_count: 0
    .wavefront_size: 64
  - .args:
      - .offset:         0
        .size:           4
        .value_kind:     by_value
      - .offset:         4
        .size:           4
        .value_kind:     by_value
      - .offset:         8
        .size:           4
        .value_kind:     by_value
      - .offset:         12
        .size:           4
        .value_kind:     by_value
      - .offset:         16
        .size:           4
        .value_kind:     by_value
      - .offset:         24
        .size:           8
        .value_kind:     by_value
      - .address_space:  global
        .offset:         32
        .size:           8
        .value_kind:     global_buffer
      - .offset:         40
        .size:           8
        .value_kind:     by_value
      - .offset:         48
        .size:           4
        .value_kind:     by_value
      - .offset:         52
        .size:           4
        .value_kind:     by_value
      - .offset:         56
        .size:           8
        .value_kind:     by_value
      - .address_space:  global
        .offset:         64
        .size:           8
        .value_kind:     global_buffer
      - .offset:         72
        .size:           8
        .value_kind:     by_value
      - .offset:         80
        .size:           4
        .value_kind:     by_value
      - .offset:         84
        .size:           4
        .value_kind:     by_value
      - .offset:         88
        .size:           8
        .value_kind:     by_value
      - .offset:         96
        .size:           8
        .value_kind:     by_value
      - .address_space:  global
        .offset:         104
        .size:           8
        .value_kind:     global_buffer
      - .offset:         112
        .size:           8
        .value_kind:     by_value
      - .offset:         120
        .size:           4
        .value_kind:     by_value
      - .offset:         124
        .size:           4
        .value_kind:     by_value
      - .offset:         128
        .size:           8
        .value_kind:     by_value
    .group_segment_fixed_size: 0
    .kernarg_segment_align: 8
    .kernarg_segment_size: 136
    .language:       OpenCL C
    .language_version:
      - 2
      - 0
    .max_flat_workgroup_size: 1024
    .name:           _ZN9rocsolver6v33100L16mfma_gemm_kernelIdidPdS2_S2_EEv18rocblas_operation_S3_T0_S4_S4_T1_T2_lS4_S4_lT3_lS4_S4_lS5_T4_lS4_S4_l
    .private_segment_fixed_size: 0
    .sgpr_count:     4
    .sgpr_spill_count: 0
    .symbol:         _ZN9rocsolver6v33100L16mfma_gemm_kernelIdidPdS2_S2_EEv18rocblas_operation_S3_T0_S4_S4_T1_T2_lS4_S4_lT3_lS4_S4_lS5_T4_lS4_S4_l.kd
    .uniform_work_group_size: 1
    .uses_dynamic_stack: false
    .vgpr_count:     0
    .vgpr_spill_count: 0
    .wavefront_size: 64
  - .args:
      - .offset:         0
        .size:           4
        .value_kind:     by_value
      - .offset:         4
        .size:           4
        .value_kind:     by_value
      - .offset:         8
        .size:           4
        .value_kind:     by_value
      - .address_space:  global
        .offset:         16
        .size:           8
        .value_kind:     global_buffer
      - .offset:         24
        .size:           1
        .value_kind:     by_value
      - .address_space:  global
        .offset:         32
        .size:           8
        .value_kind:     global_buffer
      - .offset:         40
        .size:           8
        .value_kind:     by_value
      - .offset:         48
        .size:           4
        .value_kind:     by_value
      - .offset:         52
        .size:           4
        .value_kind:     by_value
      - .offset:         56
        .size:           8
        .value_kind:     by_value
      - .offset:         64
        .size:           1
        .value_kind:     by_value
      - .address_space:  global
        .offset:         72
        .size:           8
        .value_kind:     global_buffer
      - .offset:         80
        .size:           8
        .value_kind:     by_value
      - .offset:         88
        .size:           4
        .value_kind:     by_value
      - .offset:         92
        .size:           4
        .value_kind:     by_value
      - .offset:         96
        .size:           8
        .value_kind:     by_value
      - .address_space:  global
        .offset:         104
        .size:           8
        .value_kind:     global_buffer
      - .address_space:  global
        .offset:         112
        .size:           8
        .value_kind:     global_buffer
      - .offset:         120
        .size:           8
        .value_kind:     by_value
      - .offset:         128
        .size:           4
        .value_kind:     by_value
      - .offset:         132
        .size:           4
        .value_kind:     by_value
      - .offset:         136
        .size:           8
        .value_kind:     by_value
      - .offset:         144
        .size:           4
        .value_kind:     hidden_block_count_x
      - .offset:         148
        .size:           4
        .value_kind:     hidden_block_count_y
      - .offset:         152
        .size:           4
        .value_kind:     hidden_block_count_z
      - .offset:         156
        .size:           2
        .value_kind:     hidden_group_size_x
      - .offset:         158
        .size:           2
        .value_kind:     hidden_group_size_y
      - .offset:         160
        .size:           2
        .value_kind:     hidden_group_size_z
      - .offset:         162
        .size:           2
        .value_kind:     hidden_remainder_x
      - .offset:         164
        .size:           2
        .value_kind:     hidden_remainder_y
      - .offset:         166
        .size:           2
        .value_kind:     hidden_remainder_z
      - .offset:         184
        .size:           8
        .value_kind:     hidden_global_offset_x
      - .offset:         192
        .size:           8
        .value_kind:     hidden_global_offset_y
      - .offset:         200
        .size:           8
        .value_kind:     hidden_global_offset_z
      - .offset:         208
        .size:           2
        .value_kind:     hidden_grid_dims
    .group_segment_fixed_size: 0
    .kernarg_segment_align: 8
    .kernarg_segment_size: 400
    .language:       OpenCL C
    .language_version:
      - 2
      - 0
    .max_flat_workgroup_size: 1024
    .name:           _ZN9rocsolver6v33100L11gemm_kernelIdiPKdPdS4_S4_EEvT0_S5_S5_T1_bT2_lS5_S5_lbT3_lS5_S5_lS6_T4_lS5_S5_l
    .private_segment_fixed_size: 0
    .sgpr_count:     36
    .sgpr_spill_count: 0
    .symbol:         _ZN9rocsolver6v33100L11gemm_kernelIdiPKdPdS4_S4_EEvT0_S5_S5_T1_bT2_lS5_S5_lbT3_lS5_S5_lS6_T4_lS5_S5_l.kd
    .uniform_work_group_size: 1
    .uses_dynamic_stack: false
    .vgpr_count:     14
    .vgpr_spill_count: 0
    .wavefront_size: 64
  - .args:
      - .offset:         0
        .size:           4
        .value_kind:     by_value
      - .offset:         4
        .size:           4
        .value_kind:     by_value
      - .offset:         8
        .size:           4
        .value_kind:     by_value
      - .offset:         16
        .size:           8
        .value_kind:     by_value
      - .offset:         24
        .size:           1
        .value_kind:     by_value
      - .address_space:  global
        .offset:         32
        .size:           8
        .value_kind:     global_buffer
      - .offset:         40
        .size:           8
        .value_kind:     by_value
      - .offset:         48
        .size:           4
        .value_kind:     by_value
      - .offset:         52
        .size:           4
        .value_kind:     by_value
      - .offset:         56
        .size:           8
        .value_kind:     by_value
      - .offset:         64
        .size:           1
        .value_kind:     by_value
      - .address_space:  global
        .offset:         72
        .size:           8
        .value_kind:     global_buffer
      - .offset:         80
        .size:           8
        .value_kind:     by_value
      - .offset:         88
        .size:           4
        .value_kind:     by_value
      - .offset:         92
        .size:           4
        .value_kind:     by_value
      - .offset:         96
        .size:           8
        .value_kind:     by_value
      - .offset:         104
        .size:           8
        .value_kind:     by_value
      - .address_space:  global
        .offset:         112
        .size:           8
        .value_kind:     global_buffer
      - .offset:         120
        .size:           8
        .value_kind:     by_value
      - .offset:         128
        .size:           4
        .value_kind:     by_value
      - .offset:         132
        .size:           4
        .value_kind:     by_value
      - .offset:         136
        .size:           8
        .value_kind:     by_value
      - .offset:         144
        .size:           4
        .value_kind:     hidden_block_count_x
      - .offset:         148
        .size:           4
        .value_kind:     hidden_block_count_y
      - .offset:         152
        .size:           4
        .value_kind:     hidden_block_count_z
      - .offset:         156
        .size:           2
        .value_kind:     hidden_group_size_x
      - .offset:         158
        .size:           2
        .value_kind:     hidden_group_size_y
      - .offset:         160
        .size:           2
        .value_kind:     hidden_group_size_z
      - .offset:         162
        .size:           2
        .value_kind:     hidden_remainder_x
      - .offset:         164
        .size:           2
        .value_kind:     hidden_remainder_y
      - .offset:         166
        .size:           2
        .value_kind:     hidden_remainder_z
      - .offset:         184
        .size:           8
        .value_kind:     hidden_global_offset_x
      - .offset:         192
        .size:           8
        .value_kind:     hidden_global_offset_y
      - .offset:         200
        .size:           8
        .value_kind:     hidden_global_offset_z
      - .offset:         208
        .size:           2
        .value_kind:     hidden_grid_dims
    .group_segment_fixed_size: 0
    .kernarg_segment_align: 8
    .kernarg_segment_size: 400
    .language:       OpenCL C
    .language_version:
      - 2
      - 0
    .max_flat_workgroup_size: 1024
    .name:           _ZN9rocsolver6v33100L11gemm_kernelIdidPdS2_S2_EEvT0_S3_S3_T1_bT2_lS3_S3_lbT3_lS3_S3_lS4_T4_lS3_S3_l
    .private_segment_fixed_size: 0
    .sgpr_count:     36
    .sgpr_spill_count: 0
    .symbol:         _ZN9rocsolver6v33100L11gemm_kernelIdidPdS2_S2_EEvT0_S3_S3_T1_bT2_lS3_S3_lbT3_lS3_S3_lS4_T4_lS3_S3_l.kd
    .uniform_work_group_size: 1
    .uses_dynamic_stack: false
    .vgpr_count:     14
    .vgpr_spill_count: 0
    .wavefront_size: 64
  - .args:
      - .offset:         0
        .size:           4
        .value_kind:     by_value
      - .offset:         4
        .size:           4
        .value_kind:     by_value
      - .offset:         8
        .size:           4
        .value_kind:     by_value
      - .offset:         12
        .size:           4
        .value_kind:     by_value
      - .offset:         16
        .size:           4
        .value_kind:     by_value
      - .address_space:  global
        .offset:         24
        .size:           8
        .value_kind:     global_buffer
      - .address_space:  global
        .offset:         32
        .size:           8
        .value_kind:     global_buffer
      - .offset:         40
        .size:           8
        .value_kind:     by_value
      - .offset:         48
        .size:           4
        .value_kind:     by_value
      - .offset:         52
        .size:           4
        .value_kind:     by_value
      - .offset:         56
        .size:           8
        .value_kind:     by_value
      - .address_space:  global
        .offset:         64
        .size:           8
        .value_kind:     global_buffer
      - .offset:         72
        .size:           8
        .value_kind:     by_value
      - .offset:         80
        .size:           4
        .value_kind:     by_value
      - .offset:         84
        .size:           4
        .value_kind:     by_value
      - .offset:         88
        .size:           8
        .value_kind:     by_value
      - .address_space:  global
        .offset:         96
        .size:           8
        .value_kind:     global_buffer
      - .address_space:  global
        .offset:         104
        .size:           8
        .value_kind:     global_buffer
      - .offset:         112
        .size:           8
        .value_kind:     by_value
      - .offset:         120
        .size:           4
        .value_kind:     by_value
      - .offset:         124
        .size:           4
        .value_kind:     by_value
      - .offset:         128
        .size:           8
        .value_kind:     by_value
    .group_segment_fixed_size: 0
    .kernarg_segment_align: 8
    .kernarg_segment_size: 136
    .language:       OpenCL C
    .language_version:
      - 2
      - 0
    .max_flat_workgroup_size: 1024
    .name:           _ZN9rocsolver6v33100L16mfma_gemm_kernelIdiPKdPKPdS6_S6_EEv18rocblas_operation_S7_T0_S8_S8_T1_T2_lS8_S8_lT3_lS8_S8_lS9_T4_lS8_S8_l
    .private_segment_fixed_size: 0
    .sgpr_count:     4
    .sgpr_spill_count: 0
    .symbol:         _ZN9rocsolver6v33100L16mfma_gemm_kernelIdiPKdPKPdS6_S6_EEv18rocblas_operation_S7_T0_S8_S8_T1_T2_lS8_S8_lT3_lS8_S8_lS9_T4_lS8_S8_l.kd
    .uniform_work_group_size: 1
    .uses_dynamic_stack: false
    .vgpr_count:     0
    .vgpr_spill_count: 0
    .wavefront_size: 64
  - .args:
      - .offset:         0
        .size:           4
        .value_kind:     by_value
      - .offset:         4
        .size:           4
        .value_kind:     by_value
      - .offset:         8
        .size:           4
        .value_kind:     by_value
      - .offset:         12
        .size:           4
        .value_kind:     by_value
      - .offset:         16
        .size:           4
        .value_kind:     by_value
      - .offset:         24
        .size:           8
        .value_kind:     by_value
      - .address_space:  global
        .offset:         32
        .size:           8
        .value_kind:     global_buffer
      - .offset:         40
        .size:           8
        .value_kind:     by_value
      - .offset:         48
        .size:           4
        .value_kind:     by_value
      - .offset:         52
        .size:           4
        .value_kind:     by_value
      - .offset:         56
        .size:           8
        .value_kind:     by_value
      - .address_space:  global
        .offset:         64
        .size:           8
        .value_kind:     global_buffer
      - .offset:         72
        .size:           8
        .value_kind:     by_value
      - .offset:         80
        .size:           4
        .value_kind:     by_value
      - .offset:         84
        .size:           4
        .value_kind:     by_value
      - .offset:         88
        .size:           8
        .value_kind:     by_value
      - .offset:         96
        .size:           8
        .value_kind:     by_value
      - .address_space:  global
        .offset:         104
        .size:           8
        .value_kind:     global_buffer
      - .offset:         112
        .size:           8
        .value_kind:     by_value
      - .offset:         120
        .size:           4
        .value_kind:     by_value
      - .offset:         124
        .size:           4
        .value_kind:     by_value
      - .offset:         128
        .size:           8
        .value_kind:     by_value
    .group_segment_fixed_size: 0
    .kernarg_segment_align: 8
    .kernarg_segment_size: 136
    .language:       OpenCL C
    .language_version:
      - 2
      - 0
    .max_flat_workgroup_size: 1024
    .name:           _ZN9rocsolver6v33100L16mfma_gemm_kernelIdidPKPdS4_S4_EEv18rocblas_operation_S5_T0_S6_S6_T1_T2_lS6_S6_lT3_lS6_S6_lS7_T4_lS6_S6_l
    .private_segment_fixed_size: 0
    .sgpr_count:     4
    .sgpr_spill_count: 0
    .symbol:         _ZN9rocsolver6v33100L16mfma_gemm_kernelIdidPKPdS4_S4_EEv18rocblas_operation_S5_T0_S6_S6_T1_T2_lS6_S6_lT3_lS6_S6_lS7_T4_lS6_S6_l.kd
    .uniform_work_group_size: 1
    .uses_dynamic_stack: false
    .vgpr_count:     0
    .vgpr_spill_count: 0
    .wavefront_size: 64
  - .args:
      - .offset:         0
        .size:           4
        .value_kind:     by_value
      - .offset:         4
        .size:           4
        .value_kind:     by_value
      - .offset:         8
        .size:           4
        .value_kind:     by_value
      - .address_space:  global
        .offset:         16
        .size:           8
        .value_kind:     global_buffer
      - .offset:         24
        .size:           1
        .value_kind:     by_value
      - .address_space:  global
        .offset:         32
        .size:           8
        .value_kind:     global_buffer
      - .offset:         40
        .size:           8
        .value_kind:     by_value
      - .offset:         48
        .size:           4
        .value_kind:     by_value
      - .offset:         52
        .size:           4
        .value_kind:     by_value
      - .offset:         56
        .size:           8
        .value_kind:     by_value
      - .offset:         64
        .size:           1
        .value_kind:     by_value
      - .address_space:  global
        .offset:         72
        .size:           8
        .value_kind:     global_buffer
      - .offset:         80
        .size:           8
        .value_kind:     by_value
      - .offset:         88
        .size:           4
        .value_kind:     by_value
      - .offset:         92
        .size:           4
        .value_kind:     by_value
      - .offset:         96
        .size:           8
        .value_kind:     by_value
      - .address_space:  global
        .offset:         104
        .size:           8
        .value_kind:     global_buffer
      - .address_space:  global
        .offset:         112
        .size:           8
        .value_kind:     global_buffer
      - .offset:         120
        .size:           8
        .value_kind:     by_value
      - .offset:         128
        .size:           4
        .value_kind:     by_value
      - .offset:         132
        .size:           4
        .value_kind:     by_value
      - .offset:         136
        .size:           8
        .value_kind:     by_value
      - .offset:         144
        .size:           4
        .value_kind:     hidden_block_count_x
      - .offset:         148
        .size:           4
        .value_kind:     hidden_block_count_y
      - .offset:         152
        .size:           4
        .value_kind:     hidden_block_count_z
      - .offset:         156
        .size:           2
        .value_kind:     hidden_group_size_x
      - .offset:         158
        .size:           2
        .value_kind:     hidden_group_size_y
      - .offset:         160
        .size:           2
        .value_kind:     hidden_group_size_z
      - .offset:         162
        .size:           2
        .value_kind:     hidden_remainder_x
      - .offset:         164
        .size:           2
        .value_kind:     hidden_remainder_y
      - .offset:         166
        .size:           2
        .value_kind:     hidden_remainder_z
      - .offset:         184
        .size:           8
        .value_kind:     hidden_global_offset_x
      - .offset:         192
        .size:           8
        .value_kind:     hidden_global_offset_y
      - .offset:         200
        .size:           8
        .value_kind:     hidden_global_offset_z
      - .offset:         208
        .size:           2
        .value_kind:     hidden_grid_dims
    .group_segment_fixed_size: 0
    .kernarg_segment_align: 8
    .kernarg_segment_size: 400
    .language:       OpenCL C
    .language_version:
      - 2
      - 0
    .max_flat_workgroup_size: 1024
    .name:           _ZN9rocsolver6v33100L11gemm_kernelIdiPKdPKPdS6_S6_EEvT0_S7_S7_T1_bT2_lS7_S7_lbT3_lS7_S7_lS8_T4_lS7_S7_l
    .private_segment_fixed_size: 0
    .sgpr_count:     30
    .sgpr_spill_count: 0
    .symbol:         _ZN9rocsolver6v33100L11gemm_kernelIdiPKdPKPdS6_S6_EEvT0_S7_S7_T1_bT2_lS7_S7_lbT3_lS7_S7_lS8_T4_lS7_S7_l.kd
    .uniform_work_group_size: 1
    .uses_dynamic_stack: false
    .vgpr_count:     14
    .vgpr_spill_count: 0
    .wavefront_size: 64
  - .args:
      - .offset:         0
        .size:           4
        .value_kind:     by_value
      - .offset:         4
        .size:           4
        .value_kind:     by_value
      - .offset:         8
        .size:           4
        .value_kind:     by_value
      - .offset:         16
        .size:           8
        .value_kind:     by_value
      - .offset:         24
        .size:           1
        .value_kind:     by_value
      - .address_space:  global
        .offset:         32
        .size:           8
        .value_kind:     global_buffer
      - .offset:         40
        .size:           8
        .value_kind:     by_value
      - .offset:         48
        .size:           4
        .value_kind:     by_value
      - .offset:         52
        .size:           4
        .value_kind:     by_value
      - .offset:         56
        .size:           8
        .value_kind:     by_value
      - .offset:         64
        .size:           1
        .value_kind:     by_value
      - .address_space:  global
        .offset:         72
        .size:           8
        .value_kind:     global_buffer
      - .offset:         80
        .size:           8
        .value_kind:     by_value
      - .offset:         88
        .size:           4
        .value_kind:     by_value
      - .offset:         92
        .size:           4
        .value_kind:     by_value
      - .offset:         96
        .size:           8
        .value_kind:     by_value
      - .offset:         104
        .size:           8
        .value_kind:     by_value
      - .address_space:  global
        .offset:         112
        .size:           8
        .value_kind:     global_buffer
      - .offset:         120
        .size:           8
        .value_kind:     by_value
      - .offset:         128
        .size:           4
        .value_kind:     by_value
      - .offset:         132
        .size:           4
        .value_kind:     by_value
      - .offset:         136
        .size:           8
        .value_kind:     by_value
      - .offset:         144
        .size:           4
        .value_kind:     hidden_block_count_x
      - .offset:         148
        .size:           4
        .value_kind:     hidden_block_count_y
      - .offset:         152
        .size:           4
        .value_kind:     hidden_block_count_z
      - .offset:         156
        .size:           2
        .value_kind:     hidden_group_size_x
      - .offset:         158
        .size:           2
        .value_kind:     hidden_group_size_y
      - .offset:         160
        .size:           2
        .value_kind:     hidden_group_size_z
      - .offset:         162
        .size:           2
        .value_kind:     hidden_remainder_x
      - .offset:         164
        .size:           2
        .value_kind:     hidden_remainder_y
      - .offset:         166
        .size:           2
        .value_kind:     hidden_remainder_z
      - .offset:         184
        .size:           8
        .value_kind:     hidden_global_offset_x
      - .offset:         192
        .size:           8
        .value_kind:     hidden_global_offset_y
      - .offset:         200
        .size:           8
        .value_kind:     hidden_global_offset_z
      - .offset:         208
        .size:           2
        .value_kind:     hidden_grid_dims
    .group_segment_fixed_size: 0
    .kernarg_segment_align: 8
    .kernarg_segment_size: 400
    .language:       OpenCL C
    .language_version:
      - 2
      - 0
    .max_flat_workgroup_size: 1024
    .name:           _ZN9rocsolver6v33100L11gemm_kernelIdidPKPdS4_S4_EEvT0_S5_S5_T1_bT2_lS5_S5_lbT3_lS5_S5_lS6_T4_lS5_S5_l
    .private_segment_fixed_size: 0
    .sgpr_count:     28
    .sgpr_spill_count: 0
    .symbol:         _ZN9rocsolver6v33100L11gemm_kernelIdidPKPdS4_S4_EEvT0_S5_S5_T1_bT2_lS5_S5_lbT3_lS5_S5_lS6_T4_lS5_S5_l.kd
    .uniform_work_group_size: 1
    .uses_dynamic_stack: false
    .vgpr_count:     14
    .vgpr_spill_count: 0
    .wavefront_size: 64
  - .args:
      - .address_space:  global
        .offset:         0
        .size:           8
        .value_kind:     global_buffer
      - .address_space:  global
        .offset:         8
        .size:           8
        .value_kind:     global_buffer
      - .offset:         16
        .size:           8
        .value_kind:     by_value
      - .offset:         24
        .size:           4
        .value_kind:     by_value
      - .offset:         32
        .size:           4
        .value_kind:     hidden_block_count_x
      - .offset:         36
        .size:           4
        .value_kind:     hidden_block_count_y
      - .offset:         40
        .size:           4
        .value_kind:     hidden_block_count_z
      - .offset:         44
        .size:           2
        .value_kind:     hidden_group_size_x
      - .offset:         46
        .size:           2
        .value_kind:     hidden_group_size_y
      - .offset:         48
        .size:           2
        .value_kind:     hidden_group_size_z
      - .offset:         50
        .size:           2
        .value_kind:     hidden_remainder_x
      - .offset:         52
        .size:           2
        .value_kind:     hidden_remainder_y
      - .offset:         54
        .size:           2
        .value_kind:     hidden_remainder_z
      - .offset:         72
        .size:           8
        .value_kind:     hidden_global_offset_x
      - .offset:         80
        .size:           8
        .value_kind:     hidden_global_offset_y
      - .offset:         88
        .size:           8
        .value_kind:     hidden_global_offset_z
      - .offset:         96
        .size:           2
        .value_kind:     hidden_grid_dims
    .group_segment_fixed_size: 0
    .kernarg_segment_align: 8
    .kernarg_segment_size: 288
    .language:       OpenCL C
    .language_version:
      - 2
      - 0
    .max_flat_workgroup_size: 1024
    .name:           _ZN9rocsolver6v33100L9get_arrayIdiEEvPPT_S3_lT0_
    .private_segment_fixed_size: 0
    .sgpr_count:     12
    .sgpr_spill_count: 0
    .symbol:         _ZN9rocsolver6v33100L9get_arrayIdiEEvPPT_S3_lT0_.kd
    .uniform_work_group_size: 1
    .uses_dynamic_stack: false
    .vgpr_count:     7
    .vgpr_spill_count: 0
    .wavefront_size: 64
  - .args:
      - .offset:         0
        .size:           4
        .value_kind:     by_value
      - .offset:         4
        .size:           4
        .value_kind:     by_value
      - .offset:         8
        .size:           4
        .value_kind:     by_value
      - .offset:         12
        .size:           4
        .value_kind:     by_value
      - .offset:         16
        .size:           4
        .value_kind:     by_value
      - .address_space:  global
        .offset:         24
        .size:           8
        .value_kind:     global_buffer
      - .address_space:  global
        .offset:         32
        .size:           8
        .value_kind:     global_buffer
      - .offset:         40
        .size:           8
        .value_kind:     by_value
      - .offset:         48
        .size:           4
        .value_kind:     by_value
      - .offset:         52
        .size:           4
        .value_kind:     by_value
      - .offset:         56
        .size:           8
        .value_kind:     by_value
      - .address_space:  global
        .offset:         64
        .size:           8
        .value_kind:     global_buffer
      - .offset:         72
        .size:           8
        .value_kind:     by_value
      - .offset:         80
        .size:           4
        .value_kind:     by_value
      - .offset:         84
        .size:           4
        .value_kind:     by_value
      - .offset:         88
        .size:           8
        .value_kind:     by_value
      - .address_space:  global
        .offset:         96
        .size:           8
        .value_kind:     global_buffer
      - .address_space:  global
        .offset:         104
        .size:           8
        .value_kind:     global_buffer
      - .offset:         112
        .size:           8
        .value_kind:     by_value
      - .offset:         120
        .size:           4
        .value_kind:     by_value
      - .offset:         124
        .size:           4
        .value_kind:     by_value
      - .offset:         128
        .size:           8
        .value_kind:     by_value
    .group_segment_fixed_size: 0
    .kernarg_segment_align: 8
    .kernarg_segment_size: 136
    .language:       OpenCL C
    .language_version:
      - 2
      - 0
    .max_flat_workgroup_size: 1024
    .name:           _ZN9rocsolver6v33100L16mfma_gemm_kernelIdiPKdPdPKS4_S6_EEv18rocblas_operation_S7_T0_S8_S8_T1_T2_lS8_S8_lT3_lS8_S8_lS9_T4_lS8_S8_l
    .private_segment_fixed_size: 0
    .sgpr_count:     4
    .sgpr_spill_count: 0
    .symbol:         _ZN9rocsolver6v33100L16mfma_gemm_kernelIdiPKdPdPKS4_S6_EEv18rocblas_operation_S7_T0_S8_S8_T1_T2_lS8_S8_lT3_lS8_S8_lS9_T4_lS8_S8_l.kd
    .uniform_work_group_size: 1
    .uses_dynamic_stack: false
    .vgpr_count:     0
    .vgpr_spill_count: 0
    .wavefront_size: 64
  - .args:
      - .offset:         0
        .size:           4
        .value_kind:     by_value
      - .offset:         4
        .size:           4
        .value_kind:     by_value
      - .offset:         8
        .size:           4
        .value_kind:     by_value
      - .offset:         12
        .size:           4
        .value_kind:     by_value
      - .offset:         16
        .size:           4
        .value_kind:     by_value
      - .offset:         24
        .size:           8
        .value_kind:     by_value
      - .address_space:  global
        .offset:         32
        .size:           8
        .value_kind:     global_buffer
      - .offset:         40
        .size:           8
        .value_kind:     by_value
      - .offset:         48
        .size:           4
        .value_kind:     by_value
      - .offset:         52
        .size:           4
        .value_kind:     by_value
      - .offset:         56
        .size:           8
        .value_kind:     by_value
      - .address_space:  global
        .offset:         64
        .size:           8
        .value_kind:     global_buffer
      - .offset:         72
        .size:           8
        .value_kind:     by_value
      - .offset:         80
        .size:           4
        .value_kind:     by_value
      - .offset:         84
        .size:           4
        .value_kind:     by_value
      - .offset:         88
        .size:           8
        .value_kind:     by_value
      - .offset:         96
        .size:           8
        .value_kind:     by_value
      - .address_space:  global
        .offset:         104
        .size:           8
        .value_kind:     global_buffer
      - .offset:         112
        .size:           8
        .value_kind:     by_value
      - .offset:         120
        .size:           4
        .value_kind:     by_value
      - .offset:         124
        .size:           4
        .value_kind:     by_value
      - .offset:         128
        .size:           8
        .value_kind:     by_value
    .group_segment_fixed_size: 0
    .kernarg_segment_align: 8
    .kernarg_segment_size: 136
    .language:       OpenCL C
    .language_version:
      - 2
      - 0
    .max_flat_workgroup_size: 1024
    .name:           _ZN9rocsolver6v33100L16mfma_gemm_kernelIdidPdPKS2_S4_EEv18rocblas_operation_S5_T0_S6_S6_T1_T2_lS6_S6_lT3_lS6_S6_lS7_T4_lS6_S6_l
    .private_segment_fixed_size: 0
    .sgpr_count:     4
    .sgpr_spill_count: 0
    .symbol:         _ZN9rocsolver6v33100L16mfma_gemm_kernelIdidPdPKS2_S4_EEv18rocblas_operation_S5_T0_S6_S6_T1_T2_lS6_S6_lT3_lS6_S6_lS7_T4_lS6_S6_l.kd
    .uniform_work_group_size: 1
    .uses_dynamic_stack: false
    .vgpr_count:     0
    .vgpr_spill_count: 0
    .wavefront_size: 64
  - .args:
      - .offset:         0
        .size:           4
        .value_kind:     by_value
      - .offset:         4
        .size:           4
        .value_kind:     by_value
      - .offset:         8
        .size:           4
        .value_kind:     by_value
      - .address_space:  global
        .offset:         16
        .size:           8
        .value_kind:     global_buffer
      - .offset:         24
        .size:           1
        .value_kind:     by_value
      - .address_space:  global
        .offset:         32
        .size:           8
        .value_kind:     global_buffer
      - .offset:         40
        .size:           8
        .value_kind:     by_value
      - .offset:         48
        .size:           4
        .value_kind:     by_value
      - .offset:         52
        .size:           4
        .value_kind:     by_value
      - .offset:         56
        .size:           8
        .value_kind:     by_value
      - .offset:         64
        .size:           1
        .value_kind:     by_value
      - .address_space:  global
        .offset:         72
        .size:           8
        .value_kind:     global_buffer
      - .offset:         80
        .size:           8
        .value_kind:     by_value
      - .offset:         88
        .size:           4
        .value_kind:     by_value
      - .offset:         92
        .size:           4
        .value_kind:     by_value
      - .offset:         96
        .size:           8
        .value_kind:     by_value
      - .address_space:  global
        .offset:         104
        .size:           8
        .value_kind:     global_buffer
      - .address_space:  global
        .offset:         112
        .size:           8
        .value_kind:     global_buffer
      - .offset:         120
        .size:           8
        .value_kind:     by_value
      - .offset:         128
        .size:           4
        .value_kind:     by_value
      - .offset:         132
        .size:           4
        .value_kind:     by_value
      - .offset:         136
        .size:           8
        .value_kind:     by_value
      - .offset:         144
        .size:           4
        .value_kind:     hidden_block_count_x
      - .offset:         148
        .size:           4
        .value_kind:     hidden_block_count_y
      - .offset:         152
        .size:           4
        .value_kind:     hidden_block_count_z
      - .offset:         156
        .size:           2
        .value_kind:     hidden_group_size_x
      - .offset:         158
        .size:           2
        .value_kind:     hidden_group_size_y
      - .offset:         160
        .size:           2
        .value_kind:     hidden_group_size_z
      - .offset:         162
        .size:           2
        .value_kind:     hidden_remainder_x
      - .offset:         164
        .size:           2
        .value_kind:     hidden_remainder_y
      - .offset:         166
        .size:           2
        .value_kind:     hidden_remainder_z
      - .offset:         184
        .size:           8
        .value_kind:     hidden_global_offset_x
      - .offset:         192
        .size:           8
        .value_kind:     hidden_global_offset_y
      - .offset:         200
        .size:           8
        .value_kind:     hidden_global_offset_z
      - .offset:         208
        .size:           2
        .value_kind:     hidden_grid_dims
    .group_segment_fixed_size: 0
    .kernarg_segment_align: 8
    .kernarg_segment_size: 400
    .language:       OpenCL C
    .language_version:
      - 2
      - 0
    .max_flat_workgroup_size: 1024
    .name:           _ZN9rocsolver6v33100L11gemm_kernelIdiPKdPdPKS4_S6_EEvT0_S7_S7_T1_bT2_lS7_S7_lbT3_lS7_S7_lS8_T4_lS7_S7_l
    .private_segment_fixed_size: 0
    .sgpr_count:     36
    .sgpr_spill_count: 0
    .symbol:         _ZN9rocsolver6v33100L11gemm_kernelIdiPKdPdPKS4_S6_EEvT0_S7_S7_T1_bT2_lS7_S7_lbT3_lS7_S7_lS8_T4_lS7_S7_l.kd
    .uniform_work_group_size: 1
    .uses_dynamic_stack: false
    .vgpr_count:     14
    .vgpr_spill_count: 0
    .wavefront_size: 64
  - .args:
      - .offset:         0
        .size:           4
        .value_kind:     by_value
      - .offset:         4
        .size:           4
        .value_kind:     by_value
      - .offset:         8
        .size:           4
        .value_kind:     by_value
      - .offset:         16
        .size:           8
        .value_kind:     by_value
      - .offset:         24
        .size:           1
        .value_kind:     by_value
      - .address_space:  global
        .offset:         32
        .size:           8
        .value_kind:     global_buffer
      - .offset:         40
        .size:           8
        .value_kind:     by_value
      - .offset:         48
        .size:           4
        .value_kind:     by_value
      - .offset:         52
        .size:           4
        .value_kind:     by_value
      - .offset:         56
        .size:           8
        .value_kind:     by_value
      - .offset:         64
        .size:           1
        .value_kind:     by_value
      - .address_space:  global
        .offset:         72
        .size:           8
        .value_kind:     global_buffer
      - .offset:         80
        .size:           8
        .value_kind:     by_value
      - .offset:         88
        .size:           4
        .value_kind:     by_value
      - .offset:         92
        .size:           4
        .value_kind:     by_value
      - .offset:         96
        .size:           8
        .value_kind:     by_value
      - .offset:         104
        .size:           8
        .value_kind:     by_value
      - .address_space:  global
        .offset:         112
        .size:           8
        .value_kind:     global_buffer
      - .offset:         120
        .size:           8
        .value_kind:     by_value
      - .offset:         128
        .size:           4
        .value_kind:     by_value
      - .offset:         132
        .size:           4
        .value_kind:     by_value
      - .offset:         136
        .size:           8
        .value_kind:     by_value
      - .offset:         144
        .size:           4
        .value_kind:     hidden_block_count_x
      - .offset:         148
        .size:           4
        .value_kind:     hidden_block_count_y
      - .offset:         152
        .size:           4
        .value_kind:     hidden_block_count_z
      - .offset:         156
        .size:           2
        .value_kind:     hidden_group_size_x
      - .offset:         158
        .size:           2
        .value_kind:     hidden_group_size_y
      - .offset:         160
        .size:           2
        .value_kind:     hidden_group_size_z
      - .offset:         162
        .size:           2
        .value_kind:     hidden_remainder_x
      - .offset:         164
        .size:           2
        .value_kind:     hidden_remainder_y
      - .offset:         166
        .size:           2
        .value_kind:     hidden_remainder_z
      - .offset:         184
        .size:           8
        .value_kind:     hidden_global_offset_x
      - .offset:         192
        .size:           8
        .value_kind:     hidden_global_offset_y
      - .offset:         200
        .size:           8
        .value_kind:     hidden_global_offset_z
      - .offset:         208
        .size:           2
        .value_kind:     hidden_grid_dims
    .group_segment_fixed_size: 0
    .kernarg_segment_align: 8
    .kernarg_segment_size: 400
    .language:       OpenCL C
    .language_version:
      - 2
      - 0
    .max_flat_workgroup_size: 1024
    .name:           _ZN9rocsolver6v33100L11gemm_kernelIdidPdPKS2_S4_EEvT0_S5_S5_T1_bT2_lS5_S5_lbT3_lS5_S5_lS6_T4_lS5_S5_l
    .private_segment_fixed_size: 0
    .sgpr_count:     32
    .sgpr_spill_count: 0
    .symbol:         _ZN9rocsolver6v33100L11gemm_kernelIdidPdPKS2_S4_EEvT0_S5_S5_T1_bT2_lS5_S5_lbT3_lS5_S5_lS6_T4_lS5_S5_l.kd
    .uniform_work_group_size: 1
    .uses_dynamic_stack: false
    .vgpr_count:     14
    .vgpr_spill_count: 0
    .wavefront_size: 64
  - .args:
      - .offset:         0
        .size:           4
        .value_kind:     by_value
      - .offset:         4
        .size:           4
        .value_kind:     by_value
      - .offset:         8
        .size:           4
        .value_kind:     by_value
      - .offset:         12
        .size:           4
        .value_kind:     by_value
      - .offset:         16
        .size:           4
        .value_kind:     by_value
      - .address_space:  global
        .offset:         24
        .size:           8
        .value_kind:     global_buffer
      - .address_space:  global
        .offset:         32
        .size:           8
        .value_kind:     global_buffer
      - .offset:         40
        .size:           8
        .value_kind:     by_value
      - .offset:         48
        .size:           4
        .value_kind:     by_value
      - .offset:         52
        .size:           4
        .value_kind:     by_value
      - .offset:         56
        .size:           8
        .value_kind:     by_value
      - .address_space:  global
        .offset:         64
        .size:           8
        .value_kind:     global_buffer
      - .offset:         72
        .size:           8
        .value_kind:     by_value
      - .offset:         80
        .size:           4
        .value_kind:     by_value
      - .offset:         84
        .size:           4
        .value_kind:     by_value
      - .offset:         88
        .size:           8
        .value_kind:     by_value
      - .address_space:  global
        .offset:         96
        .size:           8
        .value_kind:     global_buffer
      - .address_space:  global
        .offset:         104
        .size:           8
        .value_kind:     global_buffer
      - .offset:         112
        .size:           8
        .value_kind:     by_value
      - .offset:         120
        .size:           4
        .value_kind:     by_value
      - .offset:         124
        .size:           4
        .value_kind:     by_value
      - .offset:         128
        .size:           8
        .value_kind:     by_value
    .group_segment_fixed_size: 0
    .kernarg_segment_align: 8
    .kernarg_segment_size: 136
    .language:       OpenCL C
    .language_version:
      - 2
      - 0
    .max_flat_workgroup_size: 1024
    .name:           _ZN9rocsolver6v33100L16mfma_gemm_kernelIdiPKdPKPdS4_S6_EEv18rocblas_operation_S7_T0_S8_S8_T1_T2_lS8_S8_lT3_lS8_S8_lS9_T4_lS8_S8_l
    .private_segment_fixed_size: 0
    .sgpr_count:     4
    .sgpr_spill_count: 0
    .symbol:         _ZN9rocsolver6v33100L16mfma_gemm_kernelIdiPKdPKPdS4_S6_EEv18rocblas_operation_S7_T0_S8_S8_T1_T2_lS8_S8_lT3_lS8_S8_lS9_T4_lS8_S8_l.kd
    .uniform_work_group_size: 1
    .uses_dynamic_stack: false
    .vgpr_count:     0
    .vgpr_spill_count: 0
    .wavefront_size: 64
  - .args:
      - .offset:         0
        .size:           4
        .value_kind:     by_value
      - .offset:         4
        .size:           4
        .value_kind:     by_value
      - .offset:         8
        .size:           4
        .value_kind:     by_value
      - .offset:         12
        .size:           4
        .value_kind:     by_value
      - .offset:         16
        .size:           4
        .value_kind:     by_value
      - .offset:         24
        .size:           8
        .value_kind:     by_value
      - .address_space:  global
        .offset:         32
        .size:           8
        .value_kind:     global_buffer
      - .offset:         40
        .size:           8
        .value_kind:     by_value
      - .offset:         48
        .size:           4
        .value_kind:     by_value
      - .offset:         52
        .size:           4
        .value_kind:     by_value
      - .offset:         56
        .size:           8
        .value_kind:     by_value
      - .address_space:  global
        .offset:         64
        .size:           8
        .value_kind:     global_buffer
      - .offset:         72
        .size:           8
        .value_kind:     by_value
      - .offset:         80
        .size:           4
        .value_kind:     by_value
      - .offset:         84
        .size:           4
        .value_kind:     by_value
      - .offset:         88
        .size:           8
        .value_kind:     by_value
      - .offset:         96
        .size:           8
        .value_kind:     by_value
      - .address_space:  global
        .offset:         104
        .size:           8
        .value_kind:     global_buffer
      - .offset:         112
        .size:           8
        .value_kind:     by_value
      - .offset:         120
        .size:           4
        .value_kind:     by_value
      - .offset:         124
        .size:           4
        .value_kind:     by_value
      - .offset:         128
        .size:           8
        .value_kind:     by_value
    .group_segment_fixed_size: 0
    .kernarg_segment_align: 8
    .kernarg_segment_size: 136
    .language:       OpenCL C
    .language_version:
      - 2
      - 0
    .max_flat_workgroup_size: 1024
    .name:           _ZN9rocsolver6v33100L16mfma_gemm_kernelIdidPKPdS2_S4_EEv18rocblas_operation_S5_T0_S6_S6_T1_T2_lS6_S6_lT3_lS6_S6_lS7_T4_lS6_S6_l
    .private_segment_fixed_size: 0
    .sgpr_count:     4
    .sgpr_spill_count: 0
    .symbol:         _ZN9rocsolver6v33100L16mfma_gemm_kernelIdidPKPdS2_S4_EEv18rocblas_operation_S5_T0_S6_S6_T1_T2_lS6_S6_lT3_lS6_S6_lS7_T4_lS6_S6_l.kd
    .uniform_work_group_size: 1
    .uses_dynamic_stack: false
    .vgpr_count:     0
    .vgpr_spill_count: 0
    .wavefront_size: 64
  - .args:
      - .offset:         0
        .size:           4
        .value_kind:     by_value
      - .offset:         4
        .size:           4
        .value_kind:     by_value
      - .offset:         8
        .size:           4
        .value_kind:     by_value
      - .address_space:  global
        .offset:         16
        .size:           8
        .value_kind:     global_buffer
      - .offset:         24
        .size:           1
        .value_kind:     by_value
      - .address_space:  global
        .offset:         32
        .size:           8
        .value_kind:     global_buffer
      - .offset:         40
        .size:           8
        .value_kind:     by_value
      - .offset:         48
        .size:           4
        .value_kind:     by_value
      - .offset:         52
        .size:           4
        .value_kind:     by_value
      - .offset:         56
        .size:           8
        .value_kind:     by_value
      - .offset:         64
        .size:           1
        .value_kind:     by_value
      - .address_space:  global
        .offset:         72
        .size:           8
        .value_kind:     global_buffer
      - .offset:         80
        .size:           8
        .value_kind:     by_value
      - .offset:         88
        .size:           4
        .value_kind:     by_value
      - .offset:         92
        .size:           4
        .value_kind:     by_value
      - .offset:         96
        .size:           8
        .value_kind:     by_value
      - .address_space:  global
        .offset:         104
        .size:           8
        .value_kind:     global_buffer
      - .address_space:  global
        .offset:         112
        .size:           8
        .value_kind:     global_buffer
      - .offset:         120
        .size:           8
        .value_kind:     by_value
      - .offset:         128
        .size:           4
        .value_kind:     by_value
      - .offset:         132
        .size:           4
        .value_kind:     by_value
      - .offset:         136
        .size:           8
        .value_kind:     by_value
      - .offset:         144
        .size:           4
        .value_kind:     hidden_block_count_x
      - .offset:         148
        .size:           4
        .value_kind:     hidden_block_count_y
      - .offset:         152
        .size:           4
        .value_kind:     hidden_block_count_z
      - .offset:         156
        .size:           2
        .value_kind:     hidden_group_size_x
      - .offset:         158
        .size:           2
        .value_kind:     hidden_group_size_y
      - .offset:         160
        .size:           2
        .value_kind:     hidden_group_size_z
      - .offset:         162
        .size:           2
        .value_kind:     hidden_remainder_x
      - .offset:         164
        .size:           2
        .value_kind:     hidden_remainder_y
      - .offset:         166
        .size:           2
        .value_kind:     hidden_remainder_z
      - .offset:         184
        .size:           8
        .value_kind:     hidden_global_offset_x
      - .offset:         192
        .size:           8
        .value_kind:     hidden_global_offset_y
      - .offset:         200
        .size:           8
        .value_kind:     hidden_global_offset_z
      - .offset:         208
        .size:           2
        .value_kind:     hidden_grid_dims
    .group_segment_fixed_size: 0
    .kernarg_segment_align: 8
    .kernarg_segment_size: 400
    .language:       OpenCL C
    .language_version:
      - 2
      - 0
    .max_flat_workgroup_size: 1024
    .name:           _ZN9rocsolver6v33100L11gemm_kernelIdiPKdPKPdS4_S6_EEvT0_S7_S7_T1_bT2_lS7_S7_lbT3_lS7_S7_lS8_T4_lS7_S7_l
    .private_segment_fixed_size: 0
    .sgpr_count:     34
    .sgpr_spill_count: 0
    .symbol:         _ZN9rocsolver6v33100L11gemm_kernelIdiPKdPKPdS4_S6_EEvT0_S7_S7_T1_bT2_lS7_S7_lbT3_lS7_S7_lS8_T4_lS7_S7_l.kd
    .uniform_work_group_size: 1
    .uses_dynamic_stack: false
    .vgpr_count:     14
    .vgpr_spill_count: 0
    .wavefront_size: 64
  - .args:
      - .offset:         0
        .size:           4
        .value_kind:     by_value
      - .offset:         4
        .size:           4
        .value_kind:     by_value
      - .offset:         8
        .size:           4
        .value_kind:     by_value
      - .offset:         16
        .size:           8
        .value_kind:     by_value
      - .offset:         24
        .size:           1
        .value_kind:     by_value
      - .address_space:  global
        .offset:         32
        .size:           8
        .value_kind:     global_buffer
      - .offset:         40
        .size:           8
        .value_kind:     by_value
      - .offset:         48
        .size:           4
        .value_kind:     by_value
      - .offset:         52
        .size:           4
        .value_kind:     by_value
      - .offset:         56
        .size:           8
        .value_kind:     by_value
      - .offset:         64
        .size:           1
        .value_kind:     by_value
      - .address_space:  global
        .offset:         72
        .size:           8
        .value_kind:     global_buffer
      - .offset:         80
        .size:           8
        .value_kind:     by_value
      - .offset:         88
        .size:           4
        .value_kind:     by_value
      - .offset:         92
        .size:           4
        .value_kind:     by_value
      - .offset:         96
        .size:           8
        .value_kind:     by_value
      - .offset:         104
        .size:           8
        .value_kind:     by_value
      - .address_space:  global
        .offset:         112
        .size:           8
        .value_kind:     global_buffer
      - .offset:         120
        .size:           8
        .value_kind:     by_value
      - .offset:         128
        .size:           4
        .value_kind:     by_value
      - .offset:         132
        .size:           4
        .value_kind:     by_value
      - .offset:         136
        .size:           8
        .value_kind:     by_value
      - .offset:         144
        .size:           4
        .value_kind:     hidden_block_count_x
      - .offset:         148
        .size:           4
        .value_kind:     hidden_block_count_y
      - .offset:         152
        .size:           4
        .value_kind:     hidden_block_count_z
      - .offset:         156
        .size:           2
        .value_kind:     hidden_group_size_x
      - .offset:         158
        .size:           2
        .value_kind:     hidden_group_size_y
      - .offset:         160
        .size:           2
        .value_kind:     hidden_group_size_z
      - .offset:         162
        .size:           2
        .value_kind:     hidden_remainder_x
      - .offset:         164
        .size:           2
        .value_kind:     hidden_remainder_y
      - .offset:         166
        .size:           2
        .value_kind:     hidden_remainder_z
      - .offset:         184
        .size:           8
        .value_kind:     hidden_global_offset_x
      - .offset:         192
        .size:           8
        .value_kind:     hidden_global_offset_y
      - .offset:         200
        .size:           8
        .value_kind:     hidden_global_offset_z
      - .offset:         208
        .size:           2
        .value_kind:     hidden_grid_dims
    .group_segment_fixed_size: 0
    .kernarg_segment_align: 8
    .kernarg_segment_size: 400
    .language:       OpenCL C
    .language_version:
      - 2
      - 0
    .max_flat_workgroup_size: 1024
    .name:           _ZN9rocsolver6v33100L11gemm_kernelIdidPKPdS2_S4_EEvT0_S5_S5_T1_bT2_lS5_S5_lbT3_lS5_S5_lS6_T4_lS5_S5_l
    .private_segment_fixed_size: 0
    .sgpr_count:     32
    .sgpr_spill_count: 0
    .symbol:         _ZN9rocsolver6v33100L11gemm_kernelIdidPKPdS2_S4_EEvT0_S5_S5_T1_bT2_lS5_S5_lbT3_lS5_S5_lS6_T4_lS5_S5_l.kd
    .uniform_work_group_size: 1
    .uses_dynamic_stack: false
    .vgpr_count:     14
    .vgpr_spill_count: 0
    .wavefront_size: 64
  - .args:
      - .offset:         0
        .size:           4
        .value_kind:     by_value
      - .offset:         4
        .size:           4
        .value_kind:     by_value
      - .offset:         8
        .size:           4
        .value_kind:     by_value
      - .offset:         12
        .size:           4
        .value_kind:     by_value
      - .offset:         16
        .size:           4
        .value_kind:     by_value
      - .address_space:  global
        .offset:         24
        .size:           8
        .value_kind:     global_buffer
      - .address_space:  global
        .offset:         32
        .size:           8
        .value_kind:     global_buffer
      - .offset:         40
        .size:           8
        .value_kind:     by_value
      - .offset:         48
        .size:           4
        .value_kind:     by_value
      - .offset:         52
        .size:           4
        .value_kind:     by_value
      - .offset:         56
        .size:           8
        .value_kind:     by_value
      - .address_space:  global
        .offset:         64
        .size:           8
        .value_kind:     global_buffer
      - .offset:         72
        .size:           8
        .value_kind:     by_value
      - .offset:         80
        .size:           4
        .value_kind:     by_value
      - .offset:         84
        .size:           4
        .value_kind:     by_value
      - .offset:         88
        .size:           8
        .value_kind:     by_value
      - .address_space:  global
        .offset:         96
        .size:           8
        .value_kind:     global_buffer
      - .address_space:  global
        .offset:         104
        .size:           8
        .value_kind:     global_buffer
      - .offset:         112
        .size:           8
        .value_kind:     by_value
      - .offset:         120
        .size:           4
        .value_kind:     by_value
      - .offset:         124
        .size:           4
        .value_kind:     by_value
      - .offset:         128
        .size:           8
        .value_kind:     by_value
    .group_segment_fixed_size: 0
    .kernarg_segment_align: 8
    .kernarg_segment_size: 136
    .language:       OpenCL C
    .language_version:
      - 2
      - 0
    .max_flat_workgroup_size: 1024
    .name:           _ZN9rocsolver6v33100L16mfma_gemm_kernelIdiPKdPKPdS6_S4_EEv18rocblas_operation_S7_T0_S8_S8_T1_T2_lS8_S8_lT3_lS8_S8_lS9_T4_lS8_S8_l
    .private_segment_fixed_size: 0
    .sgpr_count:     4
    .sgpr_spill_count: 0
    .symbol:         _ZN9rocsolver6v33100L16mfma_gemm_kernelIdiPKdPKPdS6_S4_EEv18rocblas_operation_S7_T0_S8_S8_T1_T2_lS8_S8_lT3_lS8_S8_lS9_T4_lS8_S8_l.kd
    .uniform_work_group_size: 1
    .uses_dynamic_stack: false
    .vgpr_count:     0
    .vgpr_spill_count: 0
    .wavefront_size: 64
  - .args:
      - .offset:         0
        .size:           4
        .value_kind:     by_value
      - .offset:         4
        .size:           4
        .value_kind:     by_value
      - .offset:         8
        .size:           4
        .value_kind:     by_value
      - .offset:         12
        .size:           4
        .value_kind:     by_value
      - .offset:         16
        .size:           4
        .value_kind:     by_value
      - .offset:         24
        .size:           8
        .value_kind:     by_value
      - .address_space:  global
        .offset:         32
        .size:           8
        .value_kind:     global_buffer
      - .offset:         40
        .size:           8
        .value_kind:     by_value
      - .offset:         48
        .size:           4
        .value_kind:     by_value
      - .offset:         52
        .size:           4
        .value_kind:     by_value
      - .offset:         56
        .size:           8
        .value_kind:     by_value
      - .address_space:  global
        .offset:         64
        .size:           8
        .value_kind:     global_buffer
      - .offset:         72
        .size:           8
        .value_kind:     by_value
      - .offset:         80
        .size:           4
        .value_kind:     by_value
      - .offset:         84
        .size:           4
        .value_kind:     by_value
      - .offset:         88
        .size:           8
        .value_kind:     by_value
      - .offset:         96
        .size:           8
        .value_kind:     by_value
      - .address_space:  global
        .offset:         104
        .size:           8
        .value_kind:     global_buffer
      - .offset:         112
        .size:           8
        .value_kind:     by_value
      - .offset:         120
        .size:           4
        .value_kind:     by_value
      - .offset:         124
        .size:           4
        .value_kind:     by_value
      - .offset:         128
        .size:           8
        .value_kind:     by_value
    .group_segment_fixed_size: 0
    .kernarg_segment_align: 8
    .kernarg_segment_size: 136
    .language:       OpenCL C
    .language_version:
      - 2
      - 0
    .max_flat_workgroup_size: 1024
    .name:           _ZN9rocsolver6v33100L16mfma_gemm_kernelIdidPKPdS4_S2_EEv18rocblas_operation_S5_T0_S6_S6_T1_T2_lS6_S6_lT3_lS6_S6_lS7_T4_lS6_S6_l
    .private_segment_fixed_size: 0
    .sgpr_count:     4
    .sgpr_spill_count: 0
    .symbol:         _ZN9rocsolver6v33100L16mfma_gemm_kernelIdidPKPdS4_S2_EEv18rocblas_operation_S5_T0_S6_S6_T1_T2_lS6_S6_lT3_lS6_S6_lS7_T4_lS6_S6_l.kd
    .uniform_work_group_size: 1
    .uses_dynamic_stack: false
    .vgpr_count:     0
    .vgpr_spill_count: 0
    .wavefront_size: 64
  - .args:
      - .offset:         0
        .size:           4
        .value_kind:     by_value
      - .offset:         4
        .size:           4
        .value_kind:     by_value
      - .offset:         8
        .size:           4
        .value_kind:     by_value
      - .address_space:  global
        .offset:         16
        .size:           8
        .value_kind:     global_buffer
      - .offset:         24
        .size:           1
        .value_kind:     by_value
      - .address_space:  global
        .offset:         32
        .size:           8
        .value_kind:     global_buffer
      - .offset:         40
        .size:           8
        .value_kind:     by_value
      - .offset:         48
        .size:           4
        .value_kind:     by_value
      - .offset:         52
        .size:           4
        .value_kind:     by_value
      - .offset:         56
        .size:           8
        .value_kind:     by_value
      - .offset:         64
        .size:           1
        .value_kind:     by_value
      - .address_space:  global
        .offset:         72
        .size:           8
        .value_kind:     global_buffer
      - .offset:         80
        .size:           8
        .value_kind:     by_value
      - .offset:         88
        .size:           4
        .value_kind:     by_value
      - .offset:         92
        .size:           4
        .value_kind:     by_value
      - .offset:         96
        .size:           8
        .value_kind:     by_value
      - .address_space:  global
        .offset:         104
        .size:           8
        .value_kind:     global_buffer
      - .address_space:  global
        .offset:         112
        .size:           8
        .value_kind:     global_buffer
      - .offset:         120
        .size:           8
        .value_kind:     by_value
      - .offset:         128
        .size:           4
        .value_kind:     by_value
      - .offset:         132
        .size:           4
        .value_kind:     by_value
      - .offset:         136
        .size:           8
        .value_kind:     by_value
      - .offset:         144
        .size:           4
        .value_kind:     hidden_block_count_x
      - .offset:         148
        .size:           4
        .value_kind:     hidden_block_count_y
      - .offset:         152
        .size:           4
        .value_kind:     hidden_block_count_z
      - .offset:         156
        .size:           2
        .value_kind:     hidden_group_size_x
      - .offset:         158
        .size:           2
        .value_kind:     hidden_group_size_y
      - .offset:         160
        .size:           2
        .value_kind:     hidden_group_size_z
      - .offset:         162
        .size:           2
        .value_kind:     hidden_remainder_x
      - .offset:         164
        .size:           2
        .value_kind:     hidden_remainder_y
      - .offset:         166
        .size:           2
        .value_kind:     hidden_remainder_z
      - .offset:         184
        .size:           8
        .value_kind:     hidden_global_offset_x
      - .offset:         192
        .size:           8
        .value_kind:     hidden_global_offset_y
      - .offset:         200
        .size:           8
        .value_kind:     hidden_global_offset_z
      - .offset:         208
        .size:           2
        .value_kind:     hidden_grid_dims
    .group_segment_fixed_size: 0
    .kernarg_segment_align: 8
    .kernarg_segment_size: 400
    .language:       OpenCL C
    .language_version:
      - 2
      - 0
    .max_flat_workgroup_size: 1024
    .name:           _ZN9rocsolver6v33100L11gemm_kernelIdiPKdPKPdS6_S4_EEvT0_S7_S7_T1_bT2_lS7_S7_lbT3_lS7_S7_lS8_T4_lS7_S7_l
    .private_segment_fixed_size: 0
    .sgpr_count:     32
    .sgpr_spill_count: 0
    .symbol:         _ZN9rocsolver6v33100L11gemm_kernelIdiPKdPKPdS6_S4_EEvT0_S7_S7_T1_bT2_lS7_S7_lbT3_lS7_S7_lS8_T4_lS7_S7_l.kd
    .uniform_work_group_size: 1
    .uses_dynamic_stack: false
    .vgpr_count:     14
    .vgpr_spill_count: 0
    .wavefront_size: 64
  - .args:
      - .offset:         0
        .size:           4
        .value_kind:     by_value
      - .offset:         4
        .size:           4
        .value_kind:     by_value
      - .offset:         8
        .size:           4
        .value_kind:     by_value
      - .offset:         16
        .size:           8
        .value_kind:     by_value
      - .offset:         24
        .size:           1
        .value_kind:     by_value
      - .address_space:  global
        .offset:         32
        .size:           8
        .value_kind:     global_buffer
      - .offset:         40
        .size:           8
        .value_kind:     by_value
      - .offset:         48
        .size:           4
        .value_kind:     by_value
      - .offset:         52
        .size:           4
        .value_kind:     by_value
      - .offset:         56
        .size:           8
        .value_kind:     by_value
      - .offset:         64
        .size:           1
        .value_kind:     by_value
      - .address_space:  global
        .offset:         72
        .size:           8
        .value_kind:     global_buffer
      - .offset:         80
        .size:           8
        .value_kind:     by_value
      - .offset:         88
        .size:           4
        .value_kind:     by_value
      - .offset:         92
        .size:           4
        .value_kind:     by_value
      - .offset:         96
        .size:           8
        .value_kind:     by_value
      - .offset:         104
        .size:           8
        .value_kind:     by_value
      - .address_space:  global
        .offset:         112
        .size:           8
        .value_kind:     global_buffer
      - .offset:         120
        .size:           8
        .value_kind:     by_value
      - .offset:         128
        .size:           4
        .value_kind:     by_value
      - .offset:         132
        .size:           4
        .value_kind:     by_value
      - .offset:         136
        .size:           8
        .value_kind:     by_value
      - .offset:         144
        .size:           4
        .value_kind:     hidden_block_count_x
      - .offset:         148
        .size:           4
        .value_kind:     hidden_block_count_y
      - .offset:         152
        .size:           4
        .value_kind:     hidden_block_count_z
      - .offset:         156
        .size:           2
        .value_kind:     hidden_group_size_x
      - .offset:         158
        .size:           2
        .value_kind:     hidden_group_size_y
      - .offset:         160
        .size:           2
        .value_kind:     hidden_group_size_z
      - .offset:         162
        .size:           2
        .value_kind:     hidden_remainder_x
      - .offset:         164
        .size:           2
        .value_kind:     hidden_remainder_y
      - .offset:         166
        .size:           2
        .value_kind:     hidden_remainder_z
      - .offset:         184
        .size:           8
        .value_kind:     hidden_global_offset_x
      - .offset:         192
        .size:           8
        .value_kind:     hidden_global_offset_y
      - .offset:         200
        .size:           8
        .value_kind:     hidden_global_offset_z
      - .offset:         208
        .size:           2
        .value_kind:     hidden_grid_dims
    .group_segment_fixed_size: 0
    .kernarg_segment_align: 8
    .kernarg_segment_size: 400
    .language:       OpenCL C
    .language_version:
      - 2
      - 0
    .max_flat_workgroup_size: 1024
    .name:           _ZN9rocsolver6v33100L11gemm_kernelIdidPKPdS4_S2_EEvT0_S5_S5_T1_bT2_lS5_S5_lbT3_lS5_S5_lS6_T4_lS5_S5_l
    .private_segment_fixed_size: 0
    .sgpr_count:     24
    .sgpr_spill_count: 0
    .symbol:         _ZN9rocsolver6v33100L11gemm_kernelIdidPKPdS4_S2_EEvT0_S5_S5_T1_bT2_lS5_S5_lbT3_lS5_S5_lS6_T4_lS5_S5_l.kd
    .uniform_work_group_size: 1
    .uses_dynamic_stack: false
    .vgpr_count:     14
    .vgpr_spill_count: 0
    .wavefront_size: 64
  - .args:
      - .offset:         0
        .size:           4
        .value_kind:     by_value
      - .offset:         4
        .size:           4
        .value_kind:     by_value
      - .offset:         8
        .size:           4
        .value_kind:     by_value
      - .offset:         12
        .size:           4
        .value_kind:     by_value
      - .offset:         16
        .size:           4
        .value_kind:     by_value
      - .address_space:  global
        .offset:         24
        .size:           8
        .value_kind:     global_buffer
      - .address_space:  global
        .offset:         32
        .size:           8
        .value_kind:     global_buffer
      - .offset:         40
        .size:           8
        .value_kind:     by_value
      - .offset:         48
        .size:           4
        .value_kind:     by_value
      - .offset:         52
        .size:           4
        .value_kind:     by_value
      - .offset:         56
        .size:           8
        .value_kind:     by_value
      - .address_space:  global
        .offset:         64
        .size:           8
        .value_kind:     global_buffer
      - .offset:         72
        .size:           8
        .value_kind:     by_value
      - .offset:         80
        .size:           4
        .value_kind:     by_value
      - .offset:         84
        .size:           4
        .value_kind:     by_value
      - .offset:         88
        .size:           8
        .value_kind:     by_value
      - .address_space:  global
        .offset:         96
        .size:           8
        .value_kind:     global_buffer
      - .address_space:  global
        .offset:         104
        .size:           8
        .value_kind:     global_buffer
      - .offset:         112
        .size:           8
        .value_kind:     by_value
      - .offset:         120
        .size:           4
        .value_kind:     by_value
      - .offset:         124
        .size:           4
        .value_kind:     by_value
      - .offset:         128
        .size:           8
        .value_kind:     by_value
    .group_segment_fixed_size: 0
    .kernarg_segment_align: 8
    .kernarg_segment_size: 136
    .language:       OpenCL C
    .language_version:
      - 2
      - 0
    .max_flat_workgroup_size: 1024
    .name:           _ZN9rocsolver6v33100L16mfma_gemm_kernelIdiPKdPKPdS4_S4_EEv18rocblas_operation_S7_T0_S8_S8_T1_T2_lS8_S8_lT3_lS8_S8_lS9_T4_lS8_S8_l
    .private_segment_fixed_size: 0
    .sgpr_count:     4
    .sgpr_spill_count: 0
    .symbol:         _ZN9rocsolver6v33100L16mfma_gemm_kernelIdiPKdPKPdS4_S4_EEv18rocblas_operation_S7_T0_S8_S8_T1_T2_lS8_S8_lT3_lS8_S8_lS9_T4_lS8_S8_l.kd
    .uniform_work_group_size: 1
    .uses_dynamic_stack: false
    .vgpr_count:     0
    .vgpr_spill_count: 0
    .wavefront_size: 64
  - .args:
      - .offset:         0
        .size:           4
        .value_kind:     by_value
      - .offset:         4
        .size:           4
        .value_kind:     by_value
      - .offset:         8
        .size:           4
        .value_kind:     by_value
      - .offset:         12
        .size:           4
        .value_kind:     by_value
      - .offset:         16
        .size:           4
        .value_kind:     by_value
      - .offset:         24
        .size:           8
        .value_kind:     by_value
      - .address_space:  global
        .offset:         32
        .size:           8
        .value_kind:     global_buffer
      - .offset:         40
        .size:           8
        .value_kind:     by_value
      - .offset:         48
        .size:           4
        .value_kind:     by_value
      - .offset:         52
        .size:           4
        .value_kind:     by_value
      - .offset:         56
        .size:           8
        .value_kind:     by_value
      - .address_space:  global
        .offset:         64
        .size:           8
        .value_kind:     global_buffer
      - .offset:         72
        .size:           8
        .value_kind:     by_value
      - .offset:         80
        .size:           4
        .value_kind:     by_value
      - .offset:         84
        .size:           4
        .value_kind:     by_value
      - .offset:         88
        .size:           8
        .value_kind:     by_value
      - .offset:         96
        .size:           8
        .value_kind:     by_value
      - .address_space:  global
        .offset:         104
        .size:           8
        .value_kind:     global_buffer
      - .offset:         112
        .size:           8
        .value_kind:     by_value
      - .offset:         120
        .size:           4
        .value_kind:     by_value
      - .offset:         124
        .size:           4
        .value_kind:     by_value
      - .offset:         128
        .size:           8
        .value_kind:     by_value
    .group_segment_fixed_size: 0
    .kernarg_segment_align: 8
    .kernarg_segment_size: 136
    .language:       OpenCL C
    .language_version:
      - 2
      - 0
    .max_flat_workgroup_size: 1024
    .name:           _ZN9rocsolver6v33100L16mfma_gemm_kernelIdidPKPdS2_S2_EEv18rocblas_operation_S5_T0_S6_S6_T1_T2_lS6_S6_lT3_lS6_S6_lS7_T4_lS6_S6_l
    .private_segment_fixed_size: 0
    .sgpr_count:     4
    .sgpr_spill_count: 0
    .symbol:         _ZN9rocsolver6v33100L16mfma_gemm_kernelIdidPKPdS2_S2_EEv18rocblas_operation_S5_T0_S6_S6_T1_T2_lS6_S6_lT3_lS6_S6_lS7_T4_lS6_S6_l.kd
    .uniform_work_group_size: 1
    .uses_dynamic_stack: false
    .vgpr_count:     0
    .vgpr_spill_count: 0
    .wavefront_size: 64
  - .args:
      - .offset:         0
        .size:           4
        .value_kind:     by_value
      - .offset:         4
        .size:           4
        .value_kind:     by_value
      - .offset:         8
        .size:           4
        .value_kind:     by_value
      - .address_space:  global
        .offset:         16
        .size:           8
        .value_kind:     global_buffer
      - .offset:         24
        .size:           1
        .value_kind:     by_value
      - .address_space:  global
        .offset:         32
        .size:           8
        .value_kind:     global_buffer
      - .offset:         40
        .size:           8
        .value_kind:     by_value
      - .offset:         48
        .size:           4
        .value_kind:     by_value
      - .offset:         52
        .size:           4
        .value_kind:     by_value
      - .offset:         56
        .size:           8
        .value_kind:     by_value
      - .offset:         64
        .size:           1
        .value_kind:     by_value
      - .address_space:  global
        .offset:         72
        .size:           8
        .value_kind:     global_buffer
      - .offset:         80
        .size:           8
        .value_kind:     by_value
      - .offset:         88
        .size:           4
        .value_kind:     by_value
      - .offset:         92
        .size:           4
        .value_kind:     by_value
      - .offset:         96
        .size:           8
        .value_kind:     by_value
      - .address_space:  global
        .offset:         104
        .size:           8
        .value_kind:     global_buffer
      - .address_space:  global
        .offset:         112
        .size:           8
        .value_kind:     global_buffer
      - .offset:         120
        .size:           8
        .value_kind:     by_value
      - .offset:         128
        .size:           4
        .value_kind:     by_value
      - .offset:         132
        .size:           4
        .value_kind:     by_value
      - .offset:         136
        .size:           8
        .value_kind:     by_value
      - .offset:         144
        .size:           4
        .value_kind:     hidden_block_count_x
      - .offset:         148
        .size:           4
        .value_kind:     hidden_block_count_y
      - .offset:         152
        .size:           4
        .value_kind:     hidden_block_count_z
      - .offset:         156
        .size:           2
        .value_kind:     hidden_group_size_x
      - .offset:         158
        .size:           2
        .value_kind:     hidden_group_size_y
      - .offset:         160
        .size:           2
        .value_kind:     hidden_group_size_z
      - .offset:         162
        .size:           2
        .value_kind:     hidden_remainder_x
      - .offset:         164
        .size:           2
        .value_kind:     hidden_remainder_y
      - .offset:         166
        .size:           2
        .value_kind:     hidden_remainder_z
      - .offset:         184
        .size:           8
        .value_kind:     hidden_global_offset_x
      - .offset:         192
        .size:           8
        .value_kind:     hidden_global_offset_y
      - .offset:         200
        .size:           8
        .value_kind:     hidden_global_offset_z
      - .offset:         208
        .size:           2
        .value_kind:     hidden_grid_dims
    .group_segment_fixed_size: 0
    .kernarg_segment_align: 8
    .kernarg_segment_size: 400
    .language:       OpenCL C
    .language_version:
      - 2
      - 0
    .max_flat_workgroup_size: 1024
    .name:           _ZN9rocsolver6v33100L11gemm_kernelIdiPKdPKPdS4_S4_EEvT0_S7_S7_T1_bT2_lS7_S7_lbT3_lS7_S7_lS8_T4_lS7_S7_l
    .private_segment_fixed_size: 0
    .sgpr_count:     34
    .sgpr_spill_count: 0
    .symbol:         _ZN9rocsolver6v33100L11gemm_kernelIdiPKdPKPdS4_S4_EEvT0_S7_S7_T1_bT2_lS7_S7_lbT3_lS7_S7_lS8_T4_lS7_S7_l.kd
    .uniform_work_group_size: 1
    .uses_dynamic_stack: false
    .vgpr_count:     14
    .vgpr_spill_count: 0
    .wavefront_size: 64
  - .args:
      - .offset:         0
        .size:           4
        .value_kind:     by_value
      - .offset:         4
        .size:           4
        .value_kind:     by_value
      - .offset:         8
        .size:           4
        .value_kind:     by_value
      - .offset:         16
        .size:           8
        .value_kind:     by_value
      - .offset:         24
        .size:           1
        .value_kind:     by_value
      - .address_space:  global
        .offset:         32
        .size:           8
        .value_kind:     global_buffer
      - .offset:         40
        .size:           8
        .value_kind:     by_value
      - .offset:         48
        .size:           4
        .value_kind:     by_value
      - .offset:         52
        .size:           4
        .value_kind:     by_value
      - .offset:         56
        .size:           8
        .value_kind:     by_value
      - .offset:         64
        .size:           1
        .value_kind:     by_value
      - .address_space:  global
        .offset:         72
        .size:           8
        .value_kind:     global_buffer
      - .offset:         80
        .size:           8
        .value_kind:     by_value
      - .offset:         88
        .size:           4
        .value_kind:     by_value
      - .offset:         92
        .size:           4
        .value_kind:     by_value
      - .offset:         96
        .size:           8
        .value_kind:     by_value
      - .offset:         104
        .size:           8
        .value_kind:     by_value
      - .address_space:  global
        .offset:         112
        .size:           8
        .value_kind:     global_buffer
      - .offset:         120
        .size:           8
        .value_kind:     by_value
      - .offset:         128
        .size:           4
        .value_kind:     by_value
      - .offset:         132
        .size:           4
        .value_kind:     by_value
      - .offset:         136
        .size:           8
        .value_kind:     by_value
      - .offset:         144
        .size:           4
        .value_kind:     hidden_block_count_x
      - .offset:         148
        .size:           4
        .value_kind:     hidden_block_count_y
      - .offset:         152
        .size:           4
        .value_kind:     hidden_block_count_z
      - .offset:         156
        .size:           2
        .value_kind:     hidden_group_size_x
      - .offset:         158
        .size:           2
        .value_kind:     hidden_group_size_y
      - .offset:         160
        .size:           2
        .value_kind:     hidden_group_size_z
      - .offset:         162
        .size:           2
        .value_kind:     hidden_remainder_x
      - .offset:         164
        .size:           2
        .value_kind:     hidden_remainder_y
      - .offset:         166
        .size:           2
        .value_kind:     hidden_remainder_z
      - .offset:         184
        .size:           8
        .value_kind:     hidden_global_offset_x
      - .offset:         192
        .size:           8
        .value_kind:     hidden_global_offset_y
      - .offset:         200
        .size:           8
        .value_kind:     hidden_global_offset_z
      - .offset:         208
        .size:           2
        .value_kind:     hidden_grid_dims
    .group_segment_fixed_size: 0
    .kernarg_segment_align: 8
    .kernarg_segment_size: 400
    .language:       OpenCL C
    .language_version:
      - 2
      - 0
    .max_flat_workgroup_size: 1024
    .name:           _ZN9rocsolver6v33100L11gemm_kernelIdidPKPdS2_S2_EEvT0_S5_S5_T1_bT2_lS5_S5_lbT3_lS5_S5_lS6_T4_lS5_S5_l
    .private_segment_fixed_size: 0
    .sgpr_count:     32
    .sgpr_spill_count: 0
    .symbol:         _ZN9rocsolver6v33100L11gemm_kernelIdidPKPdS2_S2_EEvT0_S5_S5_T1_bT2_lS5_S5_lbT3_lS5_S5_lS6_T4_lS5_S5_l.kd
    .uniform_work_group_size: 1
    .uses_dynamic_stack: false
    .vgpr_count:     14
    .vgpr_spill_count: 0
    .wavefront_size: 64
  - .args:
      - .offset:         0
        .size:           4
        .value_kind:     by_value
      - .offset:         4
        .size:           4
        .value_kind:     by_value
      - .offset:         8
        .size:           4
        .value_kind:     by_value
      - .offset:         12
        .size:           4
        .value_kind:     by_value
      - .offset:         16
        .size:           4
        .value_kind:     by_value
      - .address_space:  global
        .offset:         24
        .size:           8
        .value_kind:     global_buffer
      - .address_space:  global
        .offset:         32
        .size:           8
        .value_kind:     global_buffer
      - .offset:         40
        .size:           8
        .value_kind:     by_value
      - .offset:         48
        .size:           4
        .value_kind:     by_value
      - .offset:         52
        .size:           4
        .value_kind:     by_value
      - .offset:         56
        .size:           8
        .value_kind:     by_value
      - .address_space:  global
        .offset:         64
        .size:           8
        .value_kind:     global_buffer
      - .offset:         72
        .size:           8
        .value_kind:     by_value
      - .offset:         80
        .size:           4
        .value_kind:     by_value
      - .offset:         84
        .size:           4
        .value_kind:     by_value
      - .offset:         88
        .size:           8
        .value_kind:     by_value
      - .address_space:  global
        .offset:         96
        .size:           8
        .value_kind:     global_buffer
      - .address_space:  global
        .offset:         104
        .size:           8
        .value_kind:     global_buffer
      - .offset:         112
        .size:           8
        .value_kind:     by_value
      - .offset:         120
        .size:           4
        .value_kind:     by_value
      - .offset:         124
        .size:           4
        .value_kind:     by_value
      - .offset:         128
        .size:           8
        .value_kind:     by_value
    .group_segment_fixed_size: 0
    .kernarg_segment_align: 8
    .kernarg_segment_size: 136
    .language:       OpenCL C
    .language_version:
      - 2
      - 0
    .max_flat_workgroup_size: 1024
    .name:           _ZN9rocsolver6v33100L16mfma_gemm_kernelIdiPKdPdPKS4_S4_EEv18rocblas_operation_S7_T0_S8_S8_T1_T2_lS8_S8_lT3_lS8_S8_lS9_T4_lS8_S8_l
    .private_segment_fixed_size: 0
    .sgpr_count:     4
    .sgpr_spill_count: 0
    .symbol:         _ZN9rocsolver6v33100L16mfma_gemm_kernelIdiPKdPdPKS4_S4_EEv18rocblas_operation_S7_T0_S8_S8_T1_T2_lS8_S8_lT3_lS8_S8_lS9_T4_lS8_S8_l.kd
    .uniform_work_group_size: 1
    .uses_dynamic_stack: false
    .vgpr_count:     0
    .vgpr_spill_count: 0
    .wavefront_size: 64
  - .args:
      - .offset:         0
        .size:           4
        .value_kind:     by_value
      - .offset:         4
        .size:           4
        .value_kind:     by_value
      - .offset:         8
        .size:           4
        .value_kind:     by_value
      - .offset:         12
        .size:           4
        .value_kind:     by_value
      - .offset:         16
        .size:           4
        .value_kind:     by_value
      - .offset:         24
        .size:           8
        .value_kind:     by_value
      - .address_space:  global
        .offset:         32
        .size:           8
        .value_kind:     global_buffer
      - .offset:         40
        .size:           8
        .value_kind:     by_value
      - .offset:         48
        .size:           4
        .value_kind:     by_value
      - .offset:         52
        .size:           4
        .value_kind:     by_value
      - .offset:         56
        .size:           8
        .value_kind:     by_value
      - .address_space:  global
        .offset:         64
        .size:           8
        .value_kind:     global_buffer
      - .offset:         72
        .size:           8
        .value_kind:     by_value
      - .offset:         80
        .size:           4
        .value_kind:     by_value
      - .offset:         84
        .size:           4
        .value_kind:     by_value
      - .offset:         88
        .size:           8
        .value_kind:     by_value
      - .offset:         96
        .size:           8
        .value_kind:     by_value
      - .address_space:  global
        .offset:         104
        .size:           8
        .value_kind:     global_buffer
      - .offset:         112
        .size:           8
        .value_kind:     by_value
      - .offset:         120
        .size:           4
        .value_kind:     by_value
      - .offset:         124
        .size:           4
        .value_kind:     by_value
      - .offset:         128
        .size:           8
        .value_kind:     by_value
    .group_segment_fixed_size: 0
    .kernarg_segment_align: 8
    .kernarg_segment_size: 136
    .language:       OpenCL C
    .language_version:
      - 2
      - 0
    .max_flat_workgroup_size: 1024
    .name:           _ZN9rocsolver6v33100L16mfma_gemm_kernelIdidPdPKS2_S2_EEv18rocblas_operation_S5_T0_S6_S6_T1_T2_lS6_S6_lT3_lS6_S6_lS7_T4_lS6_S6_l
    .private_segment_fixed_size: 0
    .sgpr_count:     4
    .sgpr_spill_count: 0
    .symbol:         _ZN9rocsolver6v33100L16mfma_gemm_kernelIdidPdPKS2_S2_EEv18rocblas_operation_S5_T0_S6_S6_T1_T2_lS6_S6_lT3_lS6_S6_lS7_T4_lS6_S6_l.kd
    .uniform_work_group_size: 1
    .uses_dynamic_stack: false
    .vgpr_count:     0
    .vgpr_spill_count: 0
    .wavefront_size: 64
  - .args:
      - .offset:         0
        .size:           4
        .value_kind:     by_value
      - .offset:         4
        .size:           4
        .value_kind:     by_value
      - .offset:         8
        .size:           4
        .value_kind:     by_value
      - .address_space:  global
        .offset:         16
        .size:           8
        .value_kind:     global_buffer
      - .offset:         24
        .size:           1
        .value_kind:     by_value
      - .address_space:  global
        .offset:         32
        .size:           8
        .value_kind:     global_buffer
      - .offset:         40
        .size:           8
        .value_kind:     by_value
      - .offset:         48
        .size:           4
        .value_kind:     by_value
      - .offset:         52
        .size:           4
        .value_kind:     by_value
      - .offset:         56
        .size:           8
        .value_kind:     by_value
      - .offset:         64
        .size:           1
        .value_kind:     by_value
      - .address_space:  global
        .offset:         72
        .size:           8
        .value_kind:     global_buffer
      - .offset:         80
        .size:           8
        .value_kind:     by_value
      - .offset:         88
        .size:           4
        .value_kind:     by_value
      - .offset:         92
        .size:           4
        .value_kind:     by_value
      - .offset:         96
        .size:           8
        .value_kind:     by_value
      - .address_space:  global
        .offset:         104
        .size:           8
        .value_kind:     global_buffer
      - .address_space:  global
        .offset:         112
        .size:           8
        .value_kind:     global_buffer
      - .offset:         120
        .size:           8
        .value_kind:     by_value
      - .offset:         128
        .size:           4
        .value_kind:     by_value
      - .offset:         132
        .size:           4
        .value_kind:     by_value
      - .offset:         136
        .size:           8
        .value_kind:     by_value
      - .offset:         144
        .size:           4
        .value_kind:     hidden_block_count_x
      - .offset:         148
        .size:           4
        .value_kind:     hidden_block_count_y
      - .offset:         152
        .size:           4
        .value_kind:     hidden_block_count_z
      - .offset:         156
        .size:           2
        .value_kind:     hidden_group_size_x
      - .offset:         158
        .size:           2
        .value_kind:     hidden_group_size_y
      - .offset:         160
        .size:           2
        .value_kind:     hidden_group_size_z
      - .offset:         162
        .size:           2
        .value_kind:     hidden_remainder_x
      - .offset:         164
        .size:           2
        .value_kind:     hidden_remainder_y
      - .offset:         166
        .size:           2
        .value_kind:     hidden_remainder_z
      - .offset:         184
        .size:           8
        .value_kind:     hidden_global_offset_x
      - .offset:         192
        .size:           8
        .value_kind:     hidden_global_offset_y
      - .offset:         200
        .size:           8
        .value_kind:     hidden_global_offset_z
      - .offset:         208
        .size:           2
        .value_kind:     hidden_grid_dims
    .group_segment_fixed_size: 0
    .kernarg_segment_align: 8
    .kernarg_segment_size: 400
    .language:       OpenCL C
    .language_version:
      - 2
      - 0
    .max_flat_workgroup_size: 1024
    .name:           _ZN9rocsolver6v33100L11gemm_kernelIdiPKdPdPKS4_S4_EEvT0_S7_S7_T1_bT2_lS7_S7_lbT3_lS7_S7_lS8_T4_lS7_S7_l
    .private_segment_fixed_size: 0
    .sgpr_count:     34
    .sgpr_spill_count: 0
    .symbol:         _ZN9rocsolver6v33100L11gemm_kernelIdiPKdPdPKS4_S4_EEvT0_S7_S7_T1_bT2_lS7_S7_lbT3_lS7_S7_lS8_T4_lS7_S7_l.kd
    .uniform_work_group_size: 1
    .uses_dynamic_stack: false
    .vgpr_count:     14
    .vgpr_spill_count: 0
    .wavefront_size: 64
  - .args:
      - .offset:         0
        .size:           4
        .value_kind:     by_value
      - .offset:         4
        .size:           4
        .value_kind:     by_value
      - .offset:         8
        .size:           4
        .value_kind:     by_value
      - .offset:         16
        .size:           8
        .value_kind:     by_value
      - .offset:         24
        .size:           1
        .value_kind:     by_value
      - .address_space:  global
        .offset:         32
        .size:           8
        .value_kind:     global_buffer
      - .offset:         40
        .size:           8
        .value_kind:     by_value
      - .offset:         48
        .size:           4
        .value_kind:     by_value
      - .offset:         52
        .size:           4
        .value_kind:     by_value
      - .offset:         56
        .size:           8
        .value_kind:     by_value
      - .offset:         64
        .size:           1
        .value_kind:     by_value
      - .address_space:  global
        .offset:         72
        .size:           8
        .value_kind:     global_buffer
      - .offset:         80
        .size:           8
        .value_kind:     by_value
      - .offset:         88
        .size:           4
        .value_kind:     by_value
      - .offset:         92
        .size:           4
        .value_kind:     by_value
      - .offset:         96
        .size:           8
        .value_kind:     by_value
      - .offset:         104
        .size:           8
        .value_kind:     by_value
      - .address_space:  global
        .offset:         112
        .size:           8
        .value_kind:     global_buffer
      - .offset:         120
        .size:           8
        .value_kind:     by_value
      - .offset:         128
        .size:           4
        .value_kind:     by_value
      - .offset:         132
        .size:           4
        .value_kind:     by_value
      - .offset:         136
        .size:           8
        .value_kind:     by_value
      - .offset:         144
        .size:           4
        .value_kind:     hidden_block_count_x
      - .offset:         148
        .size:           4
        .value_kind:     hidden_block_count_y
      - .offset:         152
        .size:           4
        .value_kind:     hidden_block_count_z
      - .offset:         156
        .size:           2
        .value_kind:     hidden_group_size_x
      - .offset:         158
        .size:           2
        .value_kind:     hidden_group_size_y
      - .offset:         160
        .size:           2
        .value_kind:     hidden_group_size_z
      - .offset:         162
        .size:           2
        .value_kind:     hidden_remainder_x
      - .offset:         164
        .size:           2
        .value_kind:     hidden_remainder_y
      - .offset:         166
        .size:           2
        .value_kind:     hidden_remainder_z
      - .offset:         184
        .size:           8
        .value_kind:     hidden_global_offset_x
      - .offset:         192
        .size:           8
        .value_kind:     hidden_global_offset_y
      - .offset:         200
        .size:           8
        .value_kind:     hidden_global_offset_z
      - .offset:         208
        .size:           2
        .value_kind:     hidden_grid_dims
    .group_segment_fixed_size: 0
    .kernarg_segment_align: 8
    .kernarg_segment_size: 400
    .language:       OpenCL C
    .language_version:
      - 2
      - 0
    .max_flat_workgroup_size: 1024
    .name:           _ZN9rocsolver6v33100L11gemm_kernelIdidPdPKS2_S2_EEvT0_S5_S5_T1_bT2_lS5_S5_lbT3_lS5_S5_lS6_T4_lS5_S5_l
    .private_segment_fixed_size: 0
    .sgpr_count:     28
    .sgpr_spill_count: 0
    .symbol:         _ZN9rocsolver6v33100L11gemm_kernelIdidPdPKS2_S2_EEvT0_S5_S5_T1_bT2_lS5_S5_lbT3_lS5_S5_lS6_T4_lS5_S5_l.kd
    .uniform_work_group_size: 1
    .uses_dynamic_stack: false
    .vgpr_count:     14
    .vgpr_spill_count: 0
    .wavefront_size: 64
  - .args:
      - .offset:         0
        .size:           4
        .value_kind:     by_value
      - .offset:         4
        .size:           4
        .value_kind:     by_value
      - .offset:         8
        .size:           4
        .value_kind:     by_value
      - .offset:         12
        .size:           4
        .value_kind:     by_value
      - .offset:         16
        .size:           4
        .value_kind:     by_value
      - .address_space:  global
        .offset:         24
        .size:           8
        .value_kind:     global_buffer
      - .address_space:  global
        .offset:         32
        .size:           8
        .value_kind:     global_buffer
      - .offset:         40
        .size:           8
        .value_kind:     by_value
      - .offset:         48
        .size:           4
        .value_kind:     by_value
      - .offset:         52
        .size:           4
        .value_kind:     by_value
      - .offset:         56
        .size:           8
        .value_kind:     by_value
      - .address_space:  global
        .offset:         64
        .size:           8
        .value_kind:     global_buffer
      - .offset:         72
        .size:           8
        .value_kind:     by_value
      - .offset:         80
        .size:           4
        .value_kind:     by_value
      - .offset:         84
        .size:           4
        .value_kind:     by_value
      - .offset:         88
        .size:           8
        .value_kind:     by_value
      - .address_space:  global
        .offset:         96
        .size:           8
        .value_kind:     global_buffer
      - .address_space:  global
        .offset:         104
        .size:           8
        .value_kind:     global_buffer
      - .offset:         112
        .size:           8
        .value_kind:     by_value
      - .offset:         120
        .size:           4
        .value_kind:     by_value
      - .offset:         124
        .size:           4
        .value_kind:     by_value
      - .offset:         128
        .size:           8
        .value_kind:     by_value
    .group_segment_fixed_size: 0
    .kernarg_segment_align: 8
    .kernarg_segment_size: 136
    .language:       OpenCL C
    .language_version:
      - 2
      - 0
    .max_flat_workgroup_size: 1024
    .name:           _ZN9rocsolver6v33100L16mfma_gemm_kernelIdiPKdPdS4_PKS4_EEv18rocblas_operation_S7_T0_S8_S8_T1_T2_lS8_S8_lT3_lS8_S8_lS9_T4_lS8_S8_l
    .private_segment_fixed_size: 0
    .sgpr_count:     4
    .sgpr_spill_count: 0
    .symbol:         _ZN9rocsolver6v33100L16mfma_gemm_kernelIdiPKdPdS4_PKS4_EEv18rocblas_operation_S7_T0_S8_S8_T1_T2_lS8_S8_lT3_lS8_S8_lS9_T4_lS8_S8_l.kd
    .uniform_work_group_size: 1
    .uses_dynamic_stack: false
    .vgpr_count:     0
    .vgpr_spill_count: 0
    .wavefront_size: 64
  - .args:
      - .offset:         0
        .size:           4
        .value_kind:     by_value
      - .offset:         4
        .size:           4
        .value_kind:     by_value
      - .offset:         8
        .size:           4
        .value_kind:     by_value
      - .offset:         12
        .size:           4
        .value_kind:     by_value
      - .offset:         16
        .size:           4
        .value_kind:     by_value
      - .offset:         24
        .size:           8
        .value_kind:     by_value
      - .address_space:  global
        .offset:         32
        .size:           8
        .value_kind:     global_buffer
      - .offset:         40
        .size:           8
        .value_kind:     by_value
      - .offset:         48
        .size:           4
        .value_kind:     by_value
      - .offset:         52
        .size:           4
        .value_kind:     by_value
      - .offset:         56
        .size:           8
        .value_kind:     by_value
      - .address_space:  global
        .offset:         64
        .size:           8
        .value_kind:     global_buffer
      - .offset:         72
        .size:           8
        .value_kind:     by_value
      - .offset:         80
        .size:           4
        .value_kind:     by_value
      - .offset:         84
        .size:           4
        .value_kind:     by_value
      - .offset:         88
        .size:           8
        .value_kind:     by_value
      - .offset:         96
        .size:           8
        .value_kind:     by_value
      - .address_space:  global
        .offset:         104
        .size:           8
        .value_kind:     global_buffer
      - .offset:         112
        .size:           8
        .value_kind:     by_value
      - .offset:         120
        .size:           4
        .value_kind:     by_value
      - .offset:         124
        .size:           4
        .value_kind:     by_value
      - .offset:         128
        .size:           8
        .value_kind:     by_value
    .group_segment_fixed_size: 0
    .kernarg_segment_align: 8
    .kernarg_segment_size: 136
    .language:       OpenCL C
    .language_version:
      - 2
      - 0
    .max_flat_workgroup_size: 1024
    .name:           _ZN9rocsolver6v33100L16mfma_gemm_kernelIdidPdS2_PKS2_EEv18rocblas_operation_S5_T0_S6_S6_T1_T2_lS6_S6_lT3_lS6_S6_lS7_T4_lS6_S6_l
    .private_segment_fixed_size: 0
    .sgpr_count:     4
    .sgpr_spill_count: 0
    .symbol:         _ZN9rocsolver6v33100L16mfma_gemm_kernelIdidPdS2_PKS2_EEv18rocblas_operation_S5_T0_S6_S6_T1_T2_lS6_S6_lT3_lS6_S6_lS7_T4_lS6_S6_l.kd
    .uniform_work_group_size: 1
    .uses_dynamic_stack: false
    .vgpr_count:     0
    .vgpr_spill_count: 0
    .wavefront_size: 64
  - .args:
      - .offset:         0
        .size:           4
        .value_kind:     by_value
      - .offset:         4
        .size:           4
        .value_kind:     by_value
      - .offset:         8
        .size:           4
        .value_kind:     by_value
      - .address_space:  global
        .offset:         16
        .size:           8
        .value_kind:     global_buffer
      - .offset:         24
        .size:           1
        .value_kind:     by_value
      - .address_space:  global
        .offset:         32
        .size:           8
        .value_kind:     global_buffer
      - .offset:         40
        .size:           8
        .value_kind:     by_value
      - .offset:         48
        .size:           4
        .value_kind:     by_value
      - .offset:         52
        .size:           4
        .value_kind:     by_value
      - .offset:         56
        .size:           8
        .value_kind:     by_value
      - .offset:         64
        .size:           1
        .value_kind:     by_value
      - .address_space:  global
        .offset:         72
        .size:           8
        .value_kind:     global_buffer
      - .offset:         80
        .size:           8
        .value_kind:     by_value
      - .offset:         88
        .size:           4
        .value_kind:     by_value
      - .offset:         92
        .size:           4
        .value_kind:     by_value
      - .offset:         96
        .size:           8
        .value_kind:     by_value
      - .address_space:  global
        .offset:         104
        .size:           8
        .value_kind:     global_buffer
      - .address_space:  global
        .offset:         112
        .size:           8
        .value_kind:     global_buffer
      - .offset:         120
        .size:           8
        .value_kind:     by_value
      - .offset:         128
        .size:           4
        .value_kind:     by_value
      - .offset:         132
        .size:           4
        .value_kind:     by_value
      - .offset:         136
        .size:           8
        .value_kind:     by_value
      - .offset:         144
        .size:           4
        .value_kind:     hidden_block_count_x
      - .offset:         148
        .size:           4
        .value_kind:     hidden_block_count_y
      - .offset:         152
        .size:           4
        .value_kind:     hidden_block_count_z
      - .offset:         156
        .size:           2
        .value_kind:     hidden_group_size_x
      - .offset:         158
        .size:           2
        .value_kind:     hidden_group_size_y
      - .offset:         160
        .size:           2
        .value_kind:     hidden_group_size_z
      - .offset:         162
        .size:           2
        .value_kind:     hidden_remainder_x
      - .offset:         164
        .size:           2
        .value_kind:     hidden_remainder_y
      - .offset:         166
        .size:           2
        .value_kind:     hidden_remainder_z
      - .offset:         184
        .size:           8
        .value_kind:     hidden_global_offset_x
      - .offset:         192
        .size:           8
        .value_kind:     hidden_global_offset_y
      - .offset:         200
        .size:           8
        .value_kind:     hidden_global_offset_z
      - .offset:         208
        .size:           2
        .value_kind:     hidden_grid_dims
    .group_segment_fixed_size: 0
    .kernarg_segment_align: 8
    .kernarg_segment_size: 400
    .language:       OpenCL C
    .language_version:
      - 2
      - 0
    .max_flat_workgroup_size: 1024
    .name:           _ZN9rocsolver6v33100L11gemm_kernelIdiPKdPdS4_PKS4_EEvT0_S7_S7_T1_bT2_lS7_S7_lbT3_lS7_S7_lS8_T4_lS7_S7_l
    .private_segment_fixed_size: 0
    .sgpr_count:     36
    .sgpr_spill_count: 0
    .symbol:         _ZN9rocsolver6v33100L11gemm_kernelIdiPKdPdS4_PKS4_EEvT0_S7_S7_T1_bT2_lS7_S7_lbT3_lS7_S7_lS8_T4_lS7_S7_l.kd
    .uniform_work_group_size: 1
    .uses_dynamic_stack: false
    .vgpr_count:     14
    .vgpr_spill_count: 0
    .wavefront_size: 64
  - .args:
      - .offset:         0
        .size:           4
        .value_kind:     by_value
      - .offset:         4
        .size:           4
        .value_kind:     by_value
      - .offset:         8
        .size:           4
        .value_kind:     by_value
      - .offset:         16
        .size:           8
        .value_kind:     by_value
      - .offset:         24
        .size:           1
        .value_kind:     by_value
      - .address_space:  global
        .offset:         32
        .size:           8
        .value_kind:     global_buffer
      - .offset:         40
        .size:           8
        .value_kind:     by_value
      - .offset:         48
        .size:           4
        .value_kind:     by_value
      - .offset:         52
        .size:           4
        .value_kind:     by_value
      - .offset:         56
        .size:           8
        .value_kind:     by_value
      - .offset:         64
        .size:           1
        .value_kind:     by_value
      - .address_space:  global
        .offset:         72
        .size:           8
        .value_kind:     global_buffer
      - .offset:         80
        .size:           8
        .value_kind:     by_value
      - .offset:         88
        .size:           4
        .value_kind:     by_value
      - .offset:         92
        .size:           4
        .value_kind:     by_value
      - .offset:         96
        .size:           8
        .value_kind:     by_value
      - .offset:         104
        .size:           8
        .value_kind:     by_value
      - .address_space:  global
        .offset:         112
        .size:           8
        .value_kind:     global_buffer
      - .offset:         120
        .size:           8
        .value_kind:     by_value
      - .offset:         128
        .size:           4
        .value_kind:     by_value
      - .offset:         132
        .size:           4
        .value_kind:     by_value
      - .offset:         136
        .size:           8
        .value_kind:     by_value
      - .offset:         144
        .size:           4
        .value_kind:     hidden_block_count_x
      - .offset:         148
        .size:           4
        .value_kind:     hidden_block_count_y
      - .offset:         152
        .size:           4
        .value_kind:     hidden_block_count_z
      - .offset:         156
        .size:           2
        .value_kind:     hidden_group_size_x
      - .offset:         158
        .size:           2
        .value_kind:     hidden_group_size_y
      - .offset:         160
        .size:           2
        .value_kind:     hidden_group_size_z
      - .offset:         162
        .size:           2
        .value_kind:     hidden_remainder_x
      - .offset:         164
        .size:           2
        .value_kind:     hidden_remainder_y
      - .offset:         166
        .size:           2
        .value_kind:     hidden_remainder_z
      - .offset:         184
        .size:           8
        .value_kind:     hidden_global_offset_x
      - .offset:         192
        .size:           8
        .value_kind:     hidden_global_offset_y
      - .offset:         200
        .size:           8
        .value_kind:     hidden_global_offset_z
      - .offset:         208
        .size:           2
        .value_kind:     hidden_grid_dims
    .group_segment_fixed_size: 0
    .kernarg_segment_align: 8
    .kernarg_segment_size: 400
    .language:       OpenCL C
    .language_version:
      - 2
      - 0
    .max_flat_workgroup_size: 1024
    .name:           _ZN9rocsolver6v33100L11gemm_kernelIdidPdS2_PKS2_EEvT0_S5_S5_T1_bT2_lS5_S5_lbT3_lS5_S5_lS6_T4_lS5_S5_l
    .private_segment_fixed_size: 0
    .sgpr_count:     36
    .sgpr_spill_count: 0
    .symbol:         _ZN9rocsolver6v33100L11gemm_kernelIdidPdS2_PKS2_EEvT0_S5_S5_T1_bT2_lS5_S5_lbT3_lS5_S5_lS6_T4_lS5_S5_l.kd
    .uniform_work_group_size: 1
    .uses_dynamic_stack: false
    .vgpr_count:     14
    .vgpr_spill_count: 0
    .wavefront_size: 64
  - .args:
      - .offset:         0
        .size:           4
        .value_kind:     by_value
      - .offset:         4
        .size:           4
        .value_kind:     by_value
      - .offset:         8
        .size:           8
        .value_kind:     by_value
      - .offset:         16
        .size:           8
        .value_kind:     by_value
      - .offset:         24
        .size:           8
        .value_kind:     by_value
      - .address_space:  global
        .offset:         32
        .size:           8
        .value_kind:     global_buffer
      - .address_space:  global
        .offset:         40
        .size:           8
        .value_kind:     global_buffer
      - .offset:         48
        .size:           8
        .value_kind:     by_value
      - .offset:         56
        .size:           8
        .value_kind:     by_value
      - .offset:         64
        .size:           8
        .value_kind:     by_value
      - .offset:         72
        .size:           8
        .value_kind:     by_value
      - .address_space:  global
        .offset:         80
        .size:           8
        .value_kind:     global_buffer
      - .offset:         88
        .size:           8
        .value_kind:     by_value
      - .offset:         96
        .size:           8
        .value_kind:     by_value
      - .offset:         104
        .size:           8
        .value_kind:     by_value
      - .offset:         112
        .size:           8
        .value_kind:     by_value
      - .address_space:  global
        .offset:         120
        .size:           8
        .value_kind:     global_buffer
      - .address_space:  global
        .offset:         128
        .size:           8
        .value_kind:     global_buffer
      - .offset:         136
        .size:           8
        .value_kind:     by_value
      - .offset:         144
        .size:           8
        .value_kind:     by_value
      - .offset:         152
        .size:           8
        .value_kind:     by_value
      - .offset:         160
        .size:           8
        .value_kind:     by_value
    .group_segment_fixed_size: 0
    .kernarg_segment_align: 8
    .kernarg_segment_size: 168
    .language:       OpenCL C
    .language_version:
      - 2
      - 0
    .max_flat_workgroup_size: 1024
    .name:           _ZN9rocsolver6v33100L16mfma_gemm_kernelIdlPKdPdS4_S4_EEv18rocblas_operation_S5_T0_S6_S6_T1_T2_lS6_S6_lT3_lS6_S6_lS7_T4_lS6_S6_l
    .private_segment_fixed_size: 0
    .sgpr_count:     4
    .sgpr_spill_count: 0
    .symbol:         _ZN9rocsolver6v33100L16mfma_gemm_kernelIdlPKdPdS4_S4_EEv18rocblas_operation_S5_T0_S6_S6_T1_T2_lS6_S6_lT3_lS6_S6_lS7_T4_lS6_S6_l.kd
    .uniform_work_group_size: 1
    .uses_dynamic_stack: false
    .vgpr_count:     0
    .vgpr_spill_count: 0
    .wavefront_size: 64
  - .args:
      - .offset:         0
        .size:           4
        .value_kind:     by_value
      - .offset:         4
        .size:           4
        .value_kind:     by_value
      - .offset:         8
        .size:           8
        .value_kind:     by_value
      - .offset:         16
        .size:           8
        .value_kind:     by_value
      - .offset:         24
        .size:           8
        .value_kind:     by_value
      - .offset:         32
        .size:           8
        .value_kind:     by_value
      - .address_space:  global
        .offset:         40
        .size:           8
        .value_kind:     global_buffer
      - .offset:         48
        .size:           8
        .value_kind:     by_value
      - .offset:         56
        .size:           8
        .value_kind:     by_value
      - .offset:         64
        .size:           8
        .value_kind:     by_value
      - .offset:         72
        .size:           8
        .value_kind:     by_value
      - .address_space:  global
        .offset:         80
        .size:           8
        .value_kind:     global_buffer
      - .offset:         88
        .size:           8
        .value_kind:     by_value
      - .offset:         96
        .size:           8
        .value_kind:     by_value
      - .offset:         104
        .size:           8
        .value_kind:     by_value
      - .offset:         112
        .size:           8
        .value_kind:     by_value
      - .offset:         120
        .size:           8
        .value_kind:     by_value
      - .address_space:  global
        .offset:         128
        .size:           8
        .value_kind:     global_buffer
      - .offset:         136
        .size:           8
        .value_kind:     by_value
      - .offset:         144
        .size:           8
        .value_kind:     by_value
      - .offset:         152
        .size:           8
        .value_kind:     by_value
      - .offset:         160
        .size:           8
        .value_kind:     by_value
    .group_segment_fixed_size: 0
    .kernarg_segment_align: 8
    .kernarg_segment_size: 168
    .language:       OpenCL C
    .language_version:
      - 2
      - 0
    .max_flat_workgroup_size: 1024
    .name:           _ZN9rocsolver6v33100L16mfma_gemm_kernelIdldPdS2_S2_EEv18rocblas_operation_S3_T0_S4_S4_T1_T2_lS4_S4_lT3_lS4_S4_lS5_T4_lS4_S4_l
    .private_segment_fixed_size: 0
    .sgpr_count:     4
    .sgpr_spill_count: 0
    .symbol:         _ZN9rocsolver6v33100L16mfma_gemm_kernelIdldPdS2_S2_EEv18rocblas_operation_S3_T0_S4_S4_T1_T2_lS4_S4_lT3_lS4_S4_lS5_T4_lS4_S4_l.kd
    .uniform_work_group_size: 1
    .uses_dynamic_stack: false
    .vgpr_count:     0
    .vgpr_spill_count: 0
    .wavefront_size: 64
  - .args:
      - .offset:         0
        .size:           8
        .value_kind:     by_value
      - .offset:         8
        .size:           8
        .value_kind:     by_value
      - .offset:         16
        .size:           8
        .value_kind:     by_value
      - .address_space:  global
        .offset:         24
        .size:           8
        .value_kind:     global_buffer
      - .offset:         32
        .size:           1
        .value_kind:     by_value
      - .address_space:  global
        .offset:         40
        .size:           8
        .value_kind:     global_buffer
      - .offset:         48
        .size:           8
        .value_kind:     by_value
      - .offset:         56
        .size:           8
        .value_kind:     by_value
      - .offset:         64
        .size:           8
        .value_kind:     by_value
      - .offset:         72
        .size:           8
        .value_kind:     by_value
      - .offset:         80
        .size:           1
        .value_kind:     by_value
      - .address_space:  global
        .offset:         88
        .size:           8
        .value_kind:     global_buffer
      - .offset:         96
        .size:           8
        .value_kind:     by_value
      - .offset:         104
        .size:           8
        .value_kind:     by_value
      - .offset:         112
        .size:           8
        .value_kind:     by_value
      - .offset:         120
        .size:           8
        .value_kind:     by_value
      - .address_space:  global
        .offset:         128
        .size:           8
        .value_kind:     global_buffer
      - .address_space:  global
        .offset:         136
        .size:           8
        .value_kind:     global_buffer
      - .offset:         144
        .size:           8
        .value_kind:     by_value
      - .offset:         152
        .size:           8
        .value_kind:     by_value
      - .offset:         160
        .size:           8
        .value_kind:     by_value
      - .offset:         168
        .size:           8
        .value_kind:     by_value
      - .offset:         176
        .size:           4
        .value_kind:     hidden_block_count_x
      - .offset:         180
        .size:           4
        .value_kind:     hidden_block_count_y
      - .offset:         184
        .size:           4
        .value_kind:     hidden_block_count_z
      - .offset:         188
        .size:           2
        .value_kind:     hidden_group_size_x
      - .offset:         190
        .size:           2
        .value_kind:     hidden_group_size_y
      - .offset:         192
        .size:           2
        .value_kind:     hidden_group_size_z
      - .offset:         194
        .size:           2
        .value_kind:     hidden_remainder_x
      - .offset:         196
        .size:           2
        .value_kind:     hidden_remainder_y
      - .offset:         198
        .size:           2
        .value_kind:     hidden_remainder_z
      - .offset:         216
        .size:           8
        .value_kind:     hidden_global_offset_x
      - .offset:         224
        .size:           8
        .value_kind:     hidden_global_offset_y
      - .offset:         232
        .size:           8
        .value_kind:     hidden_global_offset_z
      - .offset:         240
        .size:           2
        .value_kind:     hidden_grid_dims
    .group_segment_fixed_size: 0
    .kernarg_segment_align: 8
    .kernarg_segment_size: 432
    .language:       OpenCL C
    .language_version:
      - 2
      - 0
    .max_flat_workgroup_size: 1024
    .name:           _ZN9rocsolver6v33100L11gemm_kernelIdlPKdPdS4_S4_EEvT0_S5_S5_T1_bT2_lS5_S5_lbT3_lS5_S5_lS6_T4_lS5_S5_l
    .private_segment_fixed_size: 0
    .sgpr_count:     48
    .sgpr_spill_count: 0
    .symbol:         _ZN9rocsolver6v33100L11gemm_kernelIdlPKdPdS4_S4_EEvT0_S5_S5_T1_bT2_lS5_S5_lbT3_lS5_S5_lS6_T4_lS5_S5_l.kd
    .uniform_work_group_size: 1
    .uses_dynamic_stack: false
    .vgpr_count:     16
    .vgpr_spill_count: 0
    .wavefront_size: 64
  - .args:
      - .offset:         0
        .size:           8
        .value_kind:     by_value
      - .offset:         8
        .size:           8
        .value_kind:     by_value
      - .offset:         16
        .size:           8
        .value_kind:     by_value
      - .offset:         24
        .size:           8
        .value_kind:     by_value
      - .offset:         32
        .size:           1
        .value_kind:     by_value
      - .address_space:  global
        .offset:         40
        .size:           8
        .value_kind:     global_buffer
      - .offset:         48
        .size:           8
        .value_kind:     by_value
      - .offset:         56
        .size:           8
        .value_kind:     by_value
      - .offset:         64
        .size:           8
        .value_kind:     by_value
      - .offset:         72
        .size:           8
        .value_kind:     by_value
      - .offset:         80
        .size:           1
        .value_kind:     by_value
      - .address_space:  global
        .offset:         88
        .size:           8
        .value_kind:     global_buffer
      - .offset:         96
        .size:           8
        .value_kind:     by_value
      - .offset:         104
        .size:           8
        .value_kind:     by_value
      - .offset:         112
        .size:           8
        .value_kind:     by_value
      - .offset:         120
        .size:           8
        .value_kind:     by_value
      - .offset:         128
        .size:           8
        .value_kind:     by_value
      - .address_space:  global
        .offset:         136
        .size:           8
        .value_kind:     global_buffer
      - .offset:         144
        .size:           8
        .value_kind:     by_value
      - .offset:         152
        .size:           8
        .value_kind:     by_value
      - .offset:         160
        .size:           8
        .value_kind:     by_value
      - .offset:         168
        .size:           8
        .value_kind:     by_value
      - .offset:         176
        .size:           4
        .value_kind:     hidden_block_count_x
      - .offset:         180
        .size:           4
        .value_kind:     hidden_block_count_y
      - .offset:         184
        .size:           4
        .value_kind:     hidden_block_count_z
      - .offset:         188
        .size:           2
        .value_kind:     hidden_group_size_x
      - .offset:         190
        .size:           2
        .value_kind:     hidden_group_size_y
      - .offset:         192
        .size:           2
        .value_kind:     hidden_group_size_z
      - .offset:         194
        .size:           2
        .value_kind:     hidden_remainder_x
      - .offset:         196
        .size:           2
        .value_kind:     hidden_remainder_y
      - .offset:         198
        .size:           2
        .value_kind:     hidden_remainder_z
      - .offset:         216
        .size:           8
        .value_kind:     hidden_global_offset_x
      - .offset:         224
        .size:           8
        .value_kind:     hidden_global_offset_y
      - .offset:         232
        .size:           8
        .value_kind:     hidden_global_offset_z
      - .offset:         240
        .size:           2
        .value_kind:     hidden_grid_dims
    .group_segment_fixed_size: 0
    .kernarg_segment_align: 8
    .kernarg_segment_size: 432
    .language:       OpenCL C
    .language_version:
      - 2
      - 0
    .max_flat_workgroup_size: 1024
    .name:           _ZN9rocsolver6v33100L11gemm_kernelIdldPdS2_S2_EEvT0_S3_S3_T1_bT2_lS3_S3_lbT3_lS3_S3_lS4_T4_lS3_S3_l
    .private_segment_fixed_size: 0
    .sgpr_count:     48
    .sgpr_spill_count: 0
    .symbol:         _ZN9rocsolver6v33100L11gemm_kernelIdldPdS2_S2_EEvT0_S3_S3_T1_bT2_lS3_S3_lbT3_lS3_S3_lS4_T4_lS3_S3_l.kd
    .uniform_work_group_size: 1
    .uses_dynamic_stack: false
    .vgpr_count:     16
    .vgpr_spill_count: 0
    .wavefront_size: 64
  - .args:
      - .offset:         0
        .size:           4
        .value_kind:     by_value
      - .offset:         4
        .size:           4
        .value_kind:     by_value
      - .offset:         8
        .size:           8
        .value_kind:     by_value
      - .offset:         16
        .size:           8
        .value_kind:     by_value
      - .offset:         24
        .size:           8
        .value_kind:     by_value
      - .address_space:  global
        .offset:         32
        .size:           8
        .value_kind:     global_buffer
      - .address_space:  global
        .offset:         40
        .size:           8
        .value_kind:     global_buffer
      - .offset:         48
        .size:           8
        .value_kind:     by_value
      - .offset:         56
        .size:           8
        .value_kind:     by_value
      - .offset:         64
        .size:           8
        .value_kind:     by_value
      - .offset:         72
        .size:           8
        .value_kind:     by_value
      - .address_space:  global
        .offset:         80
        .size:           8
        .value_kind:     global_buffer
      - .offset:         88
        .size:           8
        .value_kind:     by_value
      - .offset:         96
        .size:           8
        .value_kind:     by_value
      - .offset:         104
        .size:           8
        .value_kind:     by_value
      - .offset:         112
        .size:           8
        .value_kind:     by_value
      - .address_space:  global
        .offset:         120
        .size:           8
        .value_kind:     global_buffer
      - .address_space:  global
        .offset:         128
        .size:           8
        .value_kind:     global_buffer
      - .offset:         136
        .size:           8
        .value_kind:     by_value
      - .offset:         144
        .size:           8
        .value_kind:     by_value
      - .offset:         152
        .size:           8
        .value_kind:     by_value
      - .offset:         160
        .size:           8
        .value_kind:     by_value
    .group_segment_fixed_size: 0
    .kernarg_segment_align: 8
    .kernarg_segment_size: 168
    .language:       OpenCL C
    .language_version:
      - 2
      - 0
    .max_flat_workgroup_size: 1024
    .name:           _ZN9rocsolver6v33100L16mfma_gemm_kernelIdlPKdPKPdS6_S6_EEv18rocblas_operation_S7_T0_S8_S8_T1_T2_lS8_S8_lT3_lS8_S8_lS9_T4_lS8_S8_l
    .private_segment_fixed_size: 0
    .sgpr_count:     4
    .sgpr_spill_count: 0
    .symbol:         _ZN9rocsolver6v33100L16mfma_gemm_kernelIdlPKdPKPdS6_S6_EEv18rocblas_operation_S7_T0_S8_S8_T1_T2_lS8_S8_lT3_lS8_S8_lS9_T4_lS8_S8_l.kd
    .uniform_work_group_size: 1
    .uses_dynamic_stack: false
    .vgpr_count:     0
    .vgpr_spill_count: 0
    .wavefront_size: 64
  - .args:
      - .offset:         0
        .size:           4
        .value_kind:     by_value
      - .offset:         4
        .size:           4
        .value_kind:     by_value
      - .offset:         8
        .size:           8
        .value_kind:     by_value
      - .offset:         16
        .size:           8
        .value_kind:     by_value
      - .offset:         24
        .size:           8
        .value_kind:     by_value
      - .offset:         32
        .size:           8
        .value_kind:     by_value
      - .address_space:  global
        .offset:         40
        .size:           8
        .value_kind:     global_buffer
      - .offset:         48
        .size:           8
        .value_kind:     by_value
      - .offset:         56
        .size:           8
        .value_kind:     by_value
      - .offset:         64
        .size:           8
        .value_kind:     by_value
      - .offset:         72
        .size:           8
        .value_kind:     by_value
      - .address_space:  global
        .offset:         80
        .size:           8
        .value_kind:     global_buffer
      - .offset:         88
        .size:           8
        .value_kind:     by_value
      - .offset:         96
        .size:           8
        .value_kind:     by_value
      - .offset:         104
        .size:           8
        .value_kind:     by_value
      - .offset:         112
        .size:           8
        .value_kind:     by_value
      - .offset:         120
        .size:           8
        .value_kind:     by_value
      - .address_space:  global
        .offset:         128
        .size:           8
        .value_kind:     global_buffer
      - .offset:         136
        .size:           8
        .value_kind:     by_value
      - .offset:         144
        .size:           8
        .value_kind:     by_value
      - .offset:         152
        .size:           8
        .value_kind:     by_value
      - .offset:         160
        .size:           8
        .value_kind:     by_value
    .group_segment_fixed_size: 0
    .kernarg_segment_align: 8
    .kernarg_segment_size: 168
    .language:       OpenCL C
    .language_version:
      - 2
      - 0
    .max_flat_workgroup_size: 1024
    .name:           _ZN9rocsolver6v33100L16mfma_gemm_kernelIdldPKPdS4_S4_EEv18rocblas_operation_S5_T0_S6_S6_T1_T2_lS6_S6_lT3_lS6_S6_lS7_T4_lS6_S6_l
    .private_segment_fixed_size: 0
    .sgpr_count:     4
    .sgpr_spill_count: 0
    .symbol:         _ZN9rocsolver6v33100L16mfma_gemm_kernelIdldPKPdS4_S4_EEv18rocblas_operation_S5_T0_S6_S6_T1_T2_lS6_S6_lT3_lS6_S6_lS7_T4_lS6_S6_l.kd
    .uniform_work_group_size: 1
    .uses_dynamic_stack: false
    .vgpr_count:     0
    .vgpr_spill_count: 0
    .wavefront_size: 64
  - .args:
      - .offset:         0
        .size:           8
        .value_kind:     by_value
      - .offset:         8
        .size:           8
        .value_kind:     by_value
      - .offset:         16
        .size:           8
        .value_kind:     by_value
      - .address_space:  global
        .offset:         24
        .size:           8
        .value_kind:     global_buffer
      - .offset:         32
        .size:           1
        .value_kind:     by_value
      - .address_space:  global
        .offset:         40
        .size:           8
        .value_kind:     global_buffer
      - .offset:         48
        .size:           8
        .value_kind:     by_value
      - .offset:         56
        .size:           8
        .value_kind:     by_value
      - .offset:         64
        .size:           8
        .value_kind:     by_value
      - .offset:         72
        .size:           8
        .value_kind:     by_value
      - .offset:         80
        .size:           1
        .value_kind:     by_value
      - .address_space:  global
        .offset:         88
        .size:           8
        .value_kind:     global_buffer
      - .offset:         96
        .size:           8
        .value_kind:     by_value
      - .offset:         104
        .size:           8
        .value_kind:     by_value
      - .offset:         112
        .size:           8
        .value_kind:     by_value
      - .offset:         120
        .size:           8
        .value_kind:     by_value
      - .address_space:  global
        .offset:         128
        .size:           8
        .value_kind:     global_buffer
      - .address_space:  global
        .offset:         136
        .size:           8
        .value_kind:     global_buffer
      - .offset:         144
        .size:           8
        .value_kind:     by_value
      - .offset:         152
        .size:           8
        .value_kind:     by_value
      - .offset:         160
        .size:           8
        .value_kind:     by_value
      - .offset:         168
        .size:           8
        .value_kind:     by_value
      - .offset:         176
        .size:           4
        .value_kind:     hidden_block_count_x
      - .offset:         180
        .size:           4
        .value_kind:     hidden_block_count_y
      - .offset:         184
        .size:           4
        .value_kind:     hidden_block_count_z
      - .offset:         188
        .size:           2
        .value_kind:     hidden_group_size_x
      - .offset:         190
        .size:           2
        .value_kind:     hidden_group_size_y
      - .offset:         192
        .size:           2
        .value_kind:     hidden_group_size_z
      - .offset:         194
        .size:           2
        .value_kind:     hidden_remainder_x
      - .offset:         196
        .size:           2
        .value_kind:     hidden_remainder_y
      - .offset:         198
        .size:           2
        .value_kind:     hidden_remainder_z
      - .offset:         216
        .size:           8
        .value_kind:     hidden_global_offset_x
      - .offset:         224
        .size:           8
        .value_kind:     hidden_global_offset_y
      - .offset:         232
        .size:           8
        .value_kind:     hidden_global_offset_z
      - .offset:         240
        .size:           2
        .value_kind:     hidden_grid_dims
    .group_segment_fixed_size: 0
    .kernarg_segment_align: 8
    .kernarg_segment_size: 432
    .language:       OpenCL C
    .language_version:
      - 2
      - 0
    .max_flat_workgroup_size: 1024
    .name:           _ZN9rocsolver6v33100L11gemm_kernelIdlPKdPKPdS6_S6_EEvT0_S7_S7_T1_bT2_lS7_S7_lbT3_lS7_S7_lS8_T4_lS7_S7_l
    .private_segment_fixed_size: 0
    .sgpr_count:     48
    .sgpr_spill_count: 0
    .symbol:         _ZN9rocsolver6v33100L11gemm_kernelIdlPKdPKPdS6_S6_EEvT0_S7_S7_T1_bT2_lS7_S7_lbT3_lS7_S7_lS8_T4_lS7_S7_l.kd
    .uniform_work_group_size: 1
    .uses_dynamic_stack: false
    .vgpr_count:     16
    .vgpr_spill_count: 0
    .wavefront_size: 64
  - .args:
      - .offset:         0
        .size:           8
        .value_kind:     by_value
      - .offset:         8
        .size:           8
        .value_kind:     by_value
      - .offset:         16
        .size:           8
        .value_kind:     by_value
      - .offset:         24
        .size:           8
        .value_kind:     by_value
      - .offset:         32
        .size:           1
        .value_kind:     by_value
      - .address_space:  global
        .offset:         40
        .size:           8
        .value_kind:     global_buffer
      - .offset:         48
        .size:           8
        .value_kind:     by_value
      - .offset:         56
        .size:           8
        .value_kind:     by_value
      - .offset:         64
        .size:           8
        .value_kind:     by_value
      - .offset:         72
        .size:           8
        .value_kind:     by_value
      - .offset:         80
        .size:           1
        .value_kind:     by_value
      - .address_space:  global
        .offset:         88
        .size:           8
        .value_kind:     global_buffer
      - .offset:         96
        .size:           8
        .value_kind:     by_value
      - .offset:         104
        .size:           8
        .value_kind:     by_value
      - .offset:         112
        .size:           8
        .value_kind:     by_value
      - .offset:         120
        .size:           8
        .value_kind:     by_value
      - .offset:         128
        .size:           8
        .value_kind:     by_value
      - .address_space:  global
        .offset:         136
        .size:           8
        .value_kind:     global_buffer
      - .offset:         144
        .size:           8
        .value_kind:     by_value
      - .offset:         152
        .size:           8
        .value_kind:     by_value
      - .offset:         160
        .size:           8
        .value_kind:     by_value
      - .offset:         168
        .size:           8
        .value_kind:     by_value
      - .offset:         176
        .size:           4
        .value_kind:     hidden_block_count_x
      - .offset:         180
        .size:           4
        .value_kind:     hidden_block_count_y
      - .offset:         184
        .size:           4
        .value_kind:     hidden_block_count_z
      - .offset:         188
        .size:           2
        .value_kind:     hidden_group_size_x
      - .offset:         190
        .size:           2
        .value_kind:     hidden_group_size_y
      - .offset:         192
        .size:           2
        .value_kind:     hidden_group_size_z
      - .offset:         194
        .size:           2
        .value_kind:     hidden_remainder_x
      - .offset:         196
        .size:           2
        .value_kind:     hidden_remainder_y
      - .offset:         198
        .size:           2
        .value_kind:     hidden_remainder_z
      - .offset:         216
        .size:           8
        .value_kind:     hidden_global_offset_x
      - .offset:         224
        .size:           8
        .value_kind:     hidden_global_offset_y
      - .offset:         232
        .size:           8
        .value_kind:     hidden_global_offset_z
      - .offset:         240
        .size:           2
        .value_kind:     hidden_grid_dims
    .group_segment_fixed_size: 0
    .kernarg_segment_align: 8
    .kernarg_segment_size: 432
    .language:       OpenCL C
    .language_version:
      - 2
      - 0
    .max_flat_workgroup_size: 1024
    .name:           _ZN9rocsolver6v33100L11gemm_kernelIdldPKPdS4_S4_EEvT0_S5_S5_T1_bT2_lS5_S5_lbT3_lS5_S5_lS6_T4_lS5_S5_l
    .private_segment_fixed_size: 0
    .sgpr_count:     48
    .sgpr_spill_count: 0
    .symbol:         _ZN9rocsolver6v33100L11gemm_kernelIdldPKPdS4_S4_EEvT0_S5_S5_T1_bT2_lS5_S5_lbT3_lS5_S5_lS6_T4_lS5_S5_l.kd
    .uniform_work_group_size: 1
    .uses_dynamic_stack: false
    .vgpr_count:     16
    .vgpr_spill_count: 0
    .wavefront_size: 64
  - .args:
      - .address_space:  global
        .offset:         0
        .size:           8
        .value_kind:     global_buffer
      - .address_space:  global
        .offset:         8
        .size:           8
        .value_kind:     global_buffer
      - .offset:         16
        .size:           8
        .value_kind:     by_value
      - .offset:         24
        .size:           8
        .value_kind:     by_value
      - .offset:         32
        .size:           4
        .value_kind:     hidden_block_count_x
      - .offset:         36
        .size:           4
        .value_kind:     hidden_block_count_y
      - .offset:         40
        .size:           4
        .value_kind:     hidden_block_count_z
      - .offset:         44
        .size:           2
        .value_kind:     hidden_group_size_x
      - .offset:         46
        .size:           2
        .value_kind:     hidden_group_size_y
      - .offset:         48
        .size:           2
        .value_kind:     hidden_group_size_z
      - .offset:         50
        .size:           2
        .value_kind:     hidden_remainder_x
      - .offset:         52
        .size:           2
        .value_kind:     hidden_remainder_y
      - .offset:         54
        .size:           2
        .value_kind:     hidden_remainder_z
      - .offset:         72
        .size:           8
        .value_kind:     hidden_global_offset_x
      - .offset:         80
        .size:           8
        .value_kind:     hidden_global_offset_y
      - .offset:         88
        .size:           8
        .value_kind:     hidden_global_offset_z
      - .offset:         96
        .size:           2
        .value_kind:     hidden_grid_dims
    .group_segment_fixed_size: 0
    .kernarg_segment_align: 8
    .kernarg_segment_size: 288
    .language:       OpenCL C
    .language_version:
      - 2
      - 0
    .max_flat_workgroup_size: 1024
    .name:           _ZN9rocsolver6v33100L9get_arrayIdlEEvPPT_S3_lT0_
    .private_segment_fixed_size: 0
    .sgpr_count:     20
    .sgpr_spill_count: 0
    .symbol:         _ZN9rocsolver6v33100L9get_arrayIdlEEvPPT_S3_lT0_.kd
    .uniform_work_group_size: 1
    .uses_dynamic_stack: false
    .vgpr_count:     6
    .vgpr_spill_count: 0
    .wavefront_size: 64
  - .args:
      - .offset:         0
        .size:           4
        .value_kind:     by_value
      - .offset:         4
        .size:           4
        .value_kind:     by_value
      - .offset:         8
        .size:           8
        .value_kind:     by_value
      - .offset:         16
        .size:           8
        .value_kind:     by_value
      - .offset:         24
        .size:           8
        .value_kind:     by_value
      - .address_space:  global
        .offset:         32
        .size:           8
        .value_kind:     global_buffer
      - .address_space:  global
        .offset:         40
        .size:           8
        .value_kind:     global_buffer
      - .offset:         48
        .size:           8
        .value_kind:     by_value
      - .offset:         56
        .size:           8
        .value_kind:     by_value
      - .offset:         64
        .size:           8
        .value_kind:     by_value
      - .offset:         72
        .size:           8
        .value_kind:     by_value
      - .address_space:  global
        .offset:         80
        .size:           8
        .value_kind:     global_buffer
      - .offset:         88
        .size:           8
        .value_kind:     by_value
      - .offset:         96
        .size:           8
        .value_kind:     by_value
      - .offset:         104
        .size:           8
        .value_kind:     by_value
      - .offset:         112
        .size:           8
        .value_kind:     by_value
      - .address_space:  global
        .offset:         120
        .size:           8
        .value_kind:     global_buffer
      - .address_space:  global
        .offset:         128
        .size:           8
        .value_kind:     global_buffer
      - .offset:         136
        .size:           8
        .value_kind:     by_value
      - .offset:         144
        .size:           8
        .value_kind:     by_value
      - .offset:         152
        .size:           8
        .value_kind:     by_value
      - .offset:         160
        .size:           8
        .value_kind:     by_value
    .group_segment_fixed_size: 0
    .kernarg_segment_align: 8
    .kernarg_segment_size: 168
    .language:       OpenCL C
    .language_version:
      - 2
      - 0
    .max_flat_workgroup_size: 1024
    .name:           _ZN9rocsolver6v33100L16mfma_gemm_kernelIdlPKdPdPKS4_S6_EEv18rocblas_operation_S7_T0_S8_S8_T1_T2_lS8_S8_lT3_lS8_S8_lS9_T4_lS8_S8_l
    .private_segment_fixed_size: 0
    .sgpr_count:     4
    .sgpr_spill_count: 0
    .symbol:         _ZN9rocsolver6v33100L16mfma_gemm_kernelIdlPKdPdPKS4_S6_EEv18rocblas_operation_S7_T0_S8_S8_T1_T2_lS8_S8_lT3_lS8_S8_lS9_T4_lS8_S8_l.kd
    .uniform_work_group_size: 1
    .uses_dynamic_stack: false
    .vgpr_count:     0
    .vgpr_spill_count: 0
    .wavefront_size: 64
  - .args:
      - .offset:         0
        .size:           4
        .value_kind:     by_value
      - .offset:         4
        .size:           4
        .value_kind:     by_value
      - .offset:         8
        .size:           8
        .value_kind:     by_value
      - .offset:         16
        .size:           8
        .value_kind:     by_value
      - .offset:         24
        .size:           8
        .value_kind:     by_value
      - .offset:         32
        .size:           8
        .value_kind:     by_value
      - .address_space:  global
        .offset:         40
        .size:           8
        .value_kind:     global_buffer
      - .offset:         48
        .size:           8
        .value_kind:     by_value
      - .offset:         56
        .size:           8
        .value_kind:     by_value
      - .offset:         64
        .size:           8
        .value_kind:     by_value
      - .offset:         72
        .size:           8
        .value_kind:     by_value
      - .address_space:  global
        .offset:         80
        .size:           8
        .value_kind:     global_buffer
      - .offset:         88
        .size:           8
        .value_kind:     by_value
      - .offset:         96
        .size:           8
        .value_kind:     by_value
      - .offset:         104
        .size:           8
        .value_kind:     by_value
      - .offset:         112
        .size:           8
        .value_kind:     by_value
      - .offset:         120
        .size:           8
        .value_kind:     by_value
      - .address_space:  global
        .offset:         128
        .size:           8
        .value_kind:     global_buffer
      - .offset:         136
        .size:           8
        .value_kind:     by_value
      - .offset:         144
        .size:           8
        .value_kind:     by_value
      - .offset:         152
        .size:           8
        .value_kind:     by_value
      - .offset:         160
        .size:           8
        .value_kind:     by_value
    .group_segment_fixed_size: 0
    .kernarg_segment_align: 8
    .kernarg_segment_size: 168
    .language:       OpenCL C
    .language_version:
      - 2
      - 0
    .max_flat_workgroup_size: 1024
    .name:           _ZN9rocsolver6v33100L16mfma_gemm_kernelIdldPdPKS2_S4_EEv18rocblas_operation_S5_T0_S6_S6_T1_T2_lS6_S6_lT3_lS6_S6_lS7_T4_lS6_S6_l
    .private_segment_fixed_size: 0
    .sgpr_count:     4
    .sgpr_spill_count: 0
    .symbol:         _ZN9rocsolver6v33100L16mfma_gemm_kernelIdldPdPKS2_S4_EEv18rocblas_operation_S5_T0_S6_S6_T1_T2_lS6_S6_lT3_lS6_S6_lS7_T4_lS6_S6_l.kd
    .uniform_work_group_size: 1
    .uses_dynamic_stack: false
    .vgpr_count:     0
    .vgpr_spill_count: 0
    .wavefront_size: 64
  - .args:
      - .offset:         0
        .size:           8
        .value_kind:     by_value
      - .offset:         8
        .size:           8
        .value_kind:     by_value
      - .offset:         16
        .size:           8
        .value_kind:     by_value
      - .address_space:  global
        .offset:         24
        .size:           8
        .value_kind:     global_buffer
      - .offset:         32
        .size:           1
        .value_kind:     by_value
      - .address_space:  global
        .offset:         40
        .size:           8
        .value_kind:     global_buffer
      - .offset:         48
        .size:           8
        .value_kind:     by_value
      - .offset:         56
        .size:           8
        .value_kind:     by_value
      - .offset:         64
        .size:           8
        .value_kind:     by_value
      - .offset:         72
        .size:           8
        .value_kind:     by_value
      - .offset:         80
        .size:           1
        .value_kind:     by_value
      - .address_space:  global
        .offset:         88
        .size:           8
        .value_kind:     global_buffer
      - .offset:         96
        .size:           8
        .value_kind:     by_value
      - .offset:         104
        .size:           8
        .value_kind:     by_value
      - .offset:         112
        .size:           8
        .value_kind:     by_value
      - .offset:         120
        .size:           8
        .value_kind:     by_value
      - .address_space:  global
        .offset:         128
        .size:           8
        .value_kind:     global_buffer
      - .address_space:  global
        .offset:         136
        .size:           8
        .value_kind:     global_buffer
      - .offset:         144
        .size:           8
        .value_kind:     by_value
      - .offset:         152
        .size:           8
        .value_kind:     by_value
      - .offset:         160
        .size:           8
        .value_kind:     by_value
      - .offset:         168
        .size:           8
        .value_kind:     by_value
      - .offset:         176
        .size:           4
        .value_kind:     hidden_block_count_x
      - .offset:         180
        .size:           4
        .value_kind:     hidden_block_count_y
      - .offset:         184
        .size:           4
        .value_kind:     hidden_block_count_z
      - .offset:         188
        .size:           2
        .value_kind:     hidden_group_size_x
      - .offset:         190
        .size:           2
        .value_kind:     hidden_group_size_y
      - .offset:         192
        .size:           2
        .value_kind:     hidden_group_size_z
      - .offset:         194
        .size:           2
        .value_kind:     hidden_remainder_x
      - .offset:         196
        .size:           2
        .value_kind:     hidden_remainder_y
      - .offset:         198
        .size:           2
        .value_kind:     hidden_remainder_z
      - .offset:         216
        .size:           8
        .value_kind:     hidden_global_offset_x
      - .offset:         224
        .size:           8
        .value_kind:     hidden_global_offset_y
      - .offset:         232
        .size:           8
        .value_kind:     hidden_global_offset_z
      - .offset:         240
        .size:           2
        .value_kind:     hidden_grid_dims
    .group_segment_fixed_size: 0
    .kernarg_segment_align: 8
    .kernarg_segment_size: 432
    .language:       OpenCL C
    .language_version:
      - 2
      - 0
    .max_flat_workgroup_size: 1024
    .name:           _ZN9rocsolver6v33100L11gemm_kernelIdlPKdPdPKS4_S6_EEvT0_S7_S7_T1_bT2_lS7_S7_lbT3_lS7_S7_lS8_T4_lS7_S7_l
    .private_segment_fixed_size: 0
    .sgpr_count:     56
    .sgpr_spill_count: 0
    .symbol:         _ZN9rocsolver6v33100L11gemm_kernelIdlPKdPdPKS4_S6_EEvT0_S7_S7_T1_bT2_lS7_S7_lbT3_lS7_S7_lS8_T4_lS7_S7_l.kd
    .uniform_work_group_size: 1
    .uses_dynamic_stack: false
    .vgpr_count:     16
    .vgpr_spill_count: 0
    .wavefront_size: 64
  - .args:
      - .offset:         0
        .size:           8
        .value_kind:     by_value
      - .offset:         8
        .size:           8
        .value_kind:     by_value
      - .offset:         16
        .size:           8
        .value_kind:     by_value
      - .offset:         24
        .size:           8
        .value_kind:     by_value
      - .offset:         32
        .size:           1
        .value_kind:     by_value
      - .address_space:  global
        .offset:         40
        .size:           8
        .value_kind:     global_buffer
      - .offset:         48
        .size:           8
        .value_kind:     by_value
      - .offset:         56
        .size:           8
        .value_kind:     by_value
      - .offset:         64
        .size:           8
        .value_kind:     by_value
      - .offset:         72
        .size:           8
        .value_kind:     by_value
      - .offset:         80
        .size:           1
        .value_kind:     by_value
      - .address_space:  global
        .offset:         88
        .size:           8
        .value_kind:     global_buffer
      - .offset:         96
        .size:           8
        .value_kind:     by_value
      - .offset:         104
        .size:           8
        .value_kind:     by_value
      - .offset:         112
        .size:           8
        .value_kind:     by_value
      - .offset:         120
        .size:           8
        .value_kind:     by_value
      - .offset:         128
        .size:           8
        .value_kind:     by_value
      - .address_space:  global
        .offset:         136
        .size:           8
        .value_kind:     global_buffer
      - .offset:         144
        .size:           8
        .value_kind:     by_value
      - .offset:         152
        .size:           8
        .value_kind:     by_value
      - .offset:         160
        .size:           8
        .value_kind:     by_value
      - .offset:         168
        .size:           8
        .value_kind:     by_value
      - .offset:         176
        .size:           4
        .value_kind:     hidden_block_count_x
      - .offset:         180
        .size:           4
        .value_kind:     hidden_block_count_y
      - .offset:         184
        .size:           4
        .value_kind:     hidden_block_count_z
      - .offset:         188
        .size:           2
        .value_kind:     hidden_group_size_x
      - .offset:         190
        .size:           2
        .value_kind:     hidden_group_size_y
      - .offset:         192
        .size:           2
        .value_kind:     hidden_group_size_z
      - .offset:         194
        .size:           2
        .value_kind:     hidden_remainder_x
      - .offset:         196
        .size:           2
        .value_kind:     hidden_remainder_y
      - .offset:         198
        .size:           2
        .value_kind:     hidden_remainder_z
      - .offset:         216
        .size:           8
        .value_kind:     hidden_global_offset_x
      - .offset:         224
        .size:           8
        .value_kind:     hidden_global_offset_y
      - .offset:         232
        .size:           8
        .value_kind:     hidden_global_offset_z
      - .offset:         240
        .size:           2
        .value_kind:     hidden_grid_dims
    .group_segment_fixed_size: 0
    .kernarg_segment_align: 8
    .kernarg_segment_size: 432
    .language:       OpenCL C
    .language_version:
      - 2
      - 0
    .max_flat_workgroup_size: 1024
    .name:           _ZN9rocsolver6v33100L11gemm_kernelIdldPdPKS2_S4_EEvT0_S5_S5_T1_bT2_lS5_S5_lbT3_lS5_S5_lS6_T4_lS5_S5_l
    .private_segment_fixed_size: 0
    .sgpr_count:     56
    .sgpr_spill_count: 0
    .symbol:         _ZN9rocsolver6v33100L11gemm_kernelIdldPdPKS2_S4_EEvT0_S5_S5_T1_bT2_lS5_S5_lbT3_lS5_S5_lS6_T4_lS5_S5_l.kd
    .uniform_work_group_size: 1
    .uses_dynamic_stack: false
    .vgpr_count:     16
    .vgpr_spill_count: 0
    .wavefront_size: 64
  - .args:
      - .offset:         0
        .size:           4
        .value_kind:     by_value
      - .offset:         4
        .size:           4
        .value_kind:     by_value
      - .offset:         8
        .size:           8
        .value_kind:     by_value
      - .offset:         16
        .size:           8
        .value_kind:     by_value
      - .offset:         24
        .size:           8
        .value_kind:     by_value
      - .address_space:  global
        .offset:         32
        .size:           8
        .value_kind:     global_buffer
      - .address_space:  global
        .offset:         40
        .size:           8
        .value_kind:     global_buffer
      - .offset:         48
        .size:           8
        .value_kind:     by_value
      - .offset:         56
        .size:           8
        .value_kind:     by_value
      - .offset:         64
        .size:           8
        .value_kind:     by_value
      - .offset:         72
        .size:           8
        .value_kind:     by_value
      - .address_space:  global
        .offset:         80
        .size:           8
        .value_kind:     global_buffer
      - .offset:         88
        .size:           8
        .value_kind:     by_value
      - .offset:         96
        .size:           8
        .value_kind:     by_value
      - .offset:         104
        .size:           8
        .value_kind:     by_value
      - .offset:         112
        .size:           8
        .value_kind:     by_value
      - .address_space:  global
        .offset:         120
        .size:           8
        .value_kind:     global_buffer
      - .address_space:  global
        .offset:         128
        .size:           8
        .value_kind:     global_buffer
      - .offset:         136
        .size:           8
        .value_kind:     by_value
      - .offset:         144
        .size:           8
        .value_kind:     by_value
      - .offset:         152
        .size:           8
        .value_kind:     by_value
      - .offset:         160
        .size:           8
        .value_kind:     by_value
    .group_segment_fixed_size: 0
    .kernarg_segment_align: 8
    .kernarg_segment_size: 168
    .language:       OpenCL C
    .language_version:
      - 2
      - 0
    .max_flat_workgroup_size: 1024
    .name:           _ZN9rocsolver6v33100L16mfma_gemm_kernelIdlPKdPKPdS4_S6_EEv18rocblas_operation_S7_T0_S8_S8_T1_T2_lS8_S8_lT3_lS8_S8_lS9_T4_lS8_S8_l
    .private_segment_fixed_size: 0
    .sgpr_count:     4
    .sgpr_spill_count: 0
    .symbol:         _ZN9rocsolver6v33100L16mfma_gemm_kernelIdlPKdPKPdS4_S6_EEv18rocblas_operation_S7_T0_S8_S8_T1_T2_lS8_S8_lT3_lS8_S8_lS9_T4_lS8_S8_l.kd
    .uniform_work_group_size: 1
    .uses_dynamic_stack: false
    .vgpr_count:     0
    .vgpr_spill_count: 0
    .wavefront_size: 64
  - .args:
      - .offset:         0
        .size:           4
        .value_kind:     by_value
      - .offset:         4
        .size:           4
        .value_kind:     by_value
      - .offset:         8
        .size:           8
        .value_kind:     by_value
      - .offset:         16
        .size:           8
        .value_kind:     by_value
      - .offset:         24
        .size:           8
        .value_kind:     by_value
      - .offset:         32
        .size:           8
        .value_kind:     by_value
      - .address_space:  global
        .offset:         40
        .size:           8
        .value_kind:     global_buffer
      - .offset:         48
        .size:           8
        .value_kind:     by_value
      - .offset:         56
        .size:           8
        .value_kind:     by_value
      - .offset:         64
        .size:           8
        .value_kind:     by_value
      - .offset:         72
        .size:           8
        .value_kind:     by_value
      - .address_space:  global
        .offset:         80
        .size:           8
        .value_kind:     global_buffer
      - .offset:         88
        .size:           8
        .value_kind:     by_value
      - .offset:         96
        .size:           8
        .value_kind:     by_value
      - .offset:         104
        .size:           8
        .value_kind:     by_value
      - .offset:         112
        .size:           8
        .value_kind:     by_value
      - .offset:         120
        .size:           8
        .value_kind:     by_value
      - .address_space:  global
        .offset:         128
        .size:           8
        .value_kind:     global_buffer
      - .offset:         136
        .size:           8
        .value_kind:     by_value
      - .offset:         144
        .size:           8
        .value_kind:     by_value
      - .offset:         152
        .size:           8
        .value_kind:     by_value
      - .offset:         160
        .size:           8
        .value_kind:     by_value
    .group_segment_fixed_size: 0
    .kernarg_segment_align: 8
    .kernarg_segment_size: 168
    .language:       OpenCL C
    .language_version:
      - 2
      - 0
    .max_flat_workgroup_size: 1024
    .name:           _ZN9rocsolver6v33100L16mfma_gemm_kernelIdldPKPdS2_S4_EEv18rocblas_operation_S5_T0_S6_S6_T1_T2_lS6_S6_lT3_lS6_S6_lS7_T4_lS6_S6_l
    .private_segment_fixed_size: 0
    .sgpr_count:     4
    .sgpr_spill_count: 0
    .symbol:         _ZN9rocsolver6v33100L16mfma_gemm_kernelIdldPKPdS2_S4_EEv18rocblas_operation_S5_T0_S6_S6_T1_T2_lS6_S6_lT3_lS6_S6_lS7_T4_lS6_S6_l.kd
    .uniform_work_group_size: 1
    .uses_dynamic_stack: false
    .vgpr_count:     0
    .vgpr_spill_count: 0
    .wavefront_size: 64
  - .args:
      - .offset:         0
        .size:           8
        .value_kind:     by_value
      - .offset:         8
        .size:           8
        .value_kind:     by_value
      - .offset:         16
        .size:           8
        .value_kind:     by_value
      - .address_space:  global
        .offset:         24
        .size:           8
        .value_kind:     global_buffer
      - .offset:         32
        .size:           1
        .value_kind:     by_value
      - .address_space:  global
        .offset:         40
        .size:           8
        .value_kind:     global_buffer
      - .offset:         48
        .size:           8
        .value_kind:     by_value
      - .offset:         56
        .size:           8
        .value_kind:     by_value
      - .offset:         64
        .size:           8
        .value_kind:     by_value
      - .offset:         72
        .size:           8
        .value_kind:     by_value
      - .offset:         80
        .size:           1
        .value_kind:     by_value
      - .address_space:  global
        .offset:         88
        .size:           8
        .value_kind:     global_buffer
      - .offset:         96
        .size:           8
        .value_kind:     by_value
      - .offset:         104
        .size:           8
        .value_kind:     by_value
      - .offset:         112
        .size:           8
        .value_kind:     by_value
      - .offset:         120
        .size:           8
        .value_kind:     by_value
      - .address_space:  global
        .offset:         128
        .size:           8
        .value_kind:     global_buffer
      - .address_space:  global
        .offset:         136
        .size:           8
        .value_kind:     global_buffer
      - .offset:         144
        .size:           8
        .value_kind:     by_value
      - .offset:         152
        .size:           8
        .value_kind:     by_value
      - .offset:         160
        .size:           8
        .value_kind:     by_value
      - .offset:         168
        .size:           8
        .value_kind:     by_value
      - .offset:         176
        .size:           4
        .value_kind:     hidden_block_count_x
      - .offset:         180
        .size:           4
        .value_kind:     hidden_block_count_y
      - .offset:         184
        .size:           4
        .value_kind:     hidden_block_count_z
      - .offset:         188
        .size:           2
        .value_kind:     hidden_group_size_x
      - .offset:         190
        .size:           2
        .value_kind:     hidden_group_size_y
      - .offset:         192
        .size:           2
        .value_kind:     hidden_group_size_z
      - .offset:         194
        .size:           2
        .value_kind:     hidden_remainder_x
      - .offset:         196
        .size:           2
        .value_kind:     hidden_remainder_y
      - .offset:         198
        .size:           2
        .value_kind:     hidden_remainder_z
      - .offset:         216
        .size:           8
        .value_kind:     hidden_global_offset_x
      - .offset:         224
        .size:           8
        .value_kind:     hidden_global_offset_y
      - .offset:         232
        .size:           8
        .value_kind:     hidden_global_offset_z
      - .offset:         240
        .size:           2
        .value_kind:     hidden_grid_dims
    .group_segment_fixed_size: 0
    .kernarg_segment_align: 8
    .kernarg_segment_size: 432
    .language:       OpenCL C
    .language_version:
      - 2
      - 0
    .max_flat_workgroup_size: 1024
    .name:           _ZN9rocsolver6v33100L11gemm_kernelIdlPKdPKPdS4_S6_EEvT0_S7_S7_T1_bT2_lS7_S7_lbT3_lS7_S7_lS8_T4_lS7_S7_l
    .private_segment_fixed_size: 0
    .sgpr_count:     48
    .sgpr_spill_count: 0
    .symbol:         _ZN9rocsolver6v33100L11gemm_kernelIdlPKdPKPdS4_S6_EEvT0_S7_S7_T1_bT2_lS7_S7_lbT3_lS7_S7_lS8_T4_lS7_S7_l.kd
    .uniform_work_group_size: 1
    .uses_dynamic_stack: false
    .vgpr_count:     16
    .vgpr_spill_count: 0
    .wavefront_size: 64
  - .args:
      - .offset:         0
        .size:           8
        .value_kind:     by_value
      - .offset:         8
        .size:           8
        .value_kind:     by_value
      - .offset:         16
        .size:           8
        .value_kind:     by_value
      - .offset:         24
        .size:           8
        .value_kind:     by_value
      - .offset:         32
        .size:           1
        .value_kind:     by_value
      - .address_space:  global
        .offset:         40
        .size:           8
        .value_kind:     global_buffer
      - .offset:         48
        .size:           8
        .value_kind:     by_value
      - .offset:         56
        .size:           8
        .value_kind:     by_value
      - .offset:         64
        .size:           8
        .value_kind:     by_value
      - .offset:         72
        .size:           8
        .value_kind:     by_value
      - .offset:         80
        .size:           1
        .value_kind:     by_value
      - .address_space:  global
        .offset:         88
        .size:           8
        .value_kind:     global_buffer
      - .offset:         96
        .size:           8
        .value_kind:     by_value
      - .offset:         104
        .size:           8
        .value_kind:     by_value
      - .offset:         112
        .size:           8
        .value_kind:     by_value
      - .offset:         120
        .size:           8
        .value_kind:     by_value
      - .offset:         128
        .size:           8
        .value_kind:     by_value
      - .address_space:  global
        .offset:         136
        .size:           8
        .value_kind:     global_buffer
      - .offset:         144
        .size:           8
        .value_kind:     by_value
      - .offset:         152
        .size:           8
        .value_kind:     by_value
      - .offset:         160
        .size:           8
        .value_kind:     by_value
      - .offset:         168
        .size:           8
        .value_kind:     by_value
      - .offset:         176
        .size:           4
        .value_kind:     hidden_block_count_x
      - .offset:         180
        .size:           4
        .value_kind:     hidden_block_count_y
      - .offset:         184
        .size:           4
        .value_kind:     hidden_block_count_z
      - .offset:         188
        .size:           2
        .value_kind:     hidden_group_size_x
      - .offset:         190
        .size:           2
        .value_kind:     hidden_group_size_y
      - .offset:         192
        .size:           2
        .value_kind:     hidden_group_size_z
      - .offset:         194
        .size:           2
        .value_kind:     hidden_remainder_x
      - .offset:         196
        .size:           2
        .value_kind:     hidden_remainder_y
      - .offset:         198
        .size:           2
        .value_kind:     hidden_remainder_z
      - .offset:         216
        .size:           8
        .value_kind:     hidden_global_offset_x
      - .offset:         224
        .size:           8
        .value_kind:     hidden_global_offset_y
      - .offset:         232
        .size:           8
        .value_kind:     hidden_global_offset_z
      - .offset:         240
        .size:           2
        .value_kind:     hidden_grid_dims
    .group_segment_fixed_size: 0
    .kernarg_segment_align: 8
    .kernarg_segment_size: 432
    .language:       OpenCL C
    .language_version:
      - 2
      - 0
    .max_flat_workgroup_size: 1024
    .name:           _ZN9rocsolver6v33100L11gemm_kernelIdldPKPdS2_S4_EEvT0_S5_S5_T1_bT2_lS5_S5_lbT3_lS5_S5_lS6_T4_lS5_S5_l
    .private_segment_fixed_size: 0
    .sgpr_count:     48
    .sgpr_spill_count: 0
    .symbol:         _ZN9rocsolver6v33100L11gemm_kernelIdldPKPdS2_S4_EEvT0_S5_S5_T1_bT2_lS5_S5_lbT3_lS5_S5_lS6_T4_lS5_S5_l.kd
    .uniform_work_group_size: 1
    .uses_dynamic_stack: false
    .vgpr_count:     16
    .vgpr_spill_count: 0
    .wavefront_size: 64
  - .args:
      - .offset:         0
        .size:           4
        .value_kind:     by_value
      - .offset:         4
        .size:           4
        .value_kind:     by_value
      - .offset:         8
        .size:           8
        .value_kind:     by_value
      - .offset:         16
        .size:           8
        .value_kind:     by_value
      - .offset:         24
        .size:           8
        .value_kind:     by_value
      - .address_space:  global
        .offset:         32
        .size:           8
        .value_kind:     global_buffer
      - .address_space:  global
        .offset:         40
        .size:           8
        .value_kind:     global_buffer
      - .offset:         48
        .size:           8
        .value_kind:     by_value
      - .offset:         56
        .size:           8
        .value_kind:     by_value
      - .offset:         64
        .size:           8
        .value_kind:     by_value
      - .offset:         72
        .size:           8
        .value_kind:     by_value
      - .address_space:  global
        .offset:         80
        .size:           8
        .value_kind:     global_buffer
      - .offset:         88
        .size:           8
        .value_kind:     by_value
      - .offset:         96
        .size:           8
        .value_kind:     by_value
      - .offset:         104
        .size:           8
        .value_kind:     by_value
      - .offset:         112
        .size:           8
        .value_kind:     by_value
      - .address_space:  global
        .offset:         120
        .size:           8
        .value_kind:     global_buffer
      - .address_space:  global
        .offset:         128
        .size:           8
        .value_kind:     global_buffer
      - .offset:         136
        .size:           8
        .value_kind:     by_value
      - .offset:         144
        .size:           8
        .value_kind:     by_value
      - .offset:         152
        .size:           8
        .value_kind:     by_value
      - .offset:         160
        .size:           8
        .value_kind:     by_value
    .group_segment_fixed_size: 0
    .kernarg_segment_align: 8
    .kernarg_segment_size: 168
    .language:       OpenCL C
    .language_version:
      - 2
      - 0
    .max_flat_workgroup_size: 1024
    .name:           _ZN9rocsolver6v33100L16mfma_gemm_kernelIdlPKdPKPdS6_S4_EEv18rocblas_operation_S7_T0_S8_S8_T1_T2_lS8_S8_lT3_lS8_S8_lS9_T4_lS8_S8_l
    .private_segment_fixed_size: 0
    .sgpr_count:     4
    .sgpr_spill_count: 0
    .symbol:         _ZN9rocsolver6v33100L16mfma_gemm_kernelIdlPKdPKPdS6_S4_EEv18rocblas_operation_S7_T0_S8_S8_T1_T2_lS8_S8_lT3_lS8_S8_lS9_T4_lS8_S8_l.kd
    .uniform_work_group_size: 1
    .uses_dynamic_stack: false
    .vgpr_count:     0
    .vgpr_spill_count: 0
    .wavefront_size: 64
  - .args:
      - .offset:         0
        .size:           4
        .value_kind:     by_value
      - .offset:         4
        .size:           4
        .value_kind:     by_value
      - .offset:         8
        .size:           8
        .value_kind:     by_value
      - .offset:         16
        .size:           8
        .value_kind:     by_value
      - .offset:         24
        .size:           8
        .value_kind:     by_value
      - .offset:         32
        .size:           8
        .value_kind:     by_value
      - .address_space:  global
        .offset:         40
        .size:           8
        .value_kind:     global_buffer
      - .offset:         48
        .size:           8
        .value_kind:     by_value
      - .offset:         56
        .size:           8
        .value_kind:     by_value
      - .offset:         64
        .size:           8
        .value_kind:     by_value
      - .offset:         72
        .size:           8
        .value_kind:     by_value
      - .address_space:  global
        .offset:         80
        .size:           8
        .value_kind:     global_buffer
      - .offset:         88
        .size:           8
        .value_kind:     by_value
      - .offset:         96
        .size:           8
        .value_kind:     by_value
      - .offset:         104
        .size:           8
        .value_kind:     by_value
      - .offset:         112
        .size:           8
        .value_kind:     by_value
      - .offset:         120
        .size:           8
        .value_kind:     by_value
      - .address_space:  global
        .offset:         128
        .size:           8
        .value_kind:     global_buffer
      - .offset:         136
        .size:           8
        .value_kind:     by_value
      - .offset:         144
        .size:           8
        .value_kind:     by_value
      - .offset:         152
        .size:           8
        .value_kind:     by_value
      - .offset:         160
        .size:           8
        .value_kind:     by_value
    .group_segment_fixed_size: 0
    .kernarg_segment_align: 8
    .kernarg_segment_size: 168
    .language:       OpenCL C
    .language_version:
      - 2
      - 0
    .max_flat_workgroup_size: 1024
    .name:           _ZN9rocsolver6v33100L16mfma_gemm_kernelIdldPKPdS4_S2_EEv18rocblas_operation_S5_T0_S6_S6_T1_T2_lS6_S6_lT3_lS6_S6_lS7_T4_lS6_S6_l
    .private_segment_fixed_size: 0
    .sgpr_count:     4
    .sgpr_spill_count: 0
    .symbol:         _ZN9rocsolver6v33100L16mfma_gemm_kernelIdldPKPdS4_S2_EEv18rocblas_operation_S5_T0_S6_S6_T1_T2_lS6_S6_lT3_lS6_S6_lS7_T4_lS6_S6_l.kd
    .uniform_work_group_size: 1
    .uses_dynamic_stack: false
    .vgpr_count:     0
    .vgpr_spill_count: 0
    .wavefront_size: 64
  - .args:
      - .offset:         0
        .size:           8
        .value_kind:     by_value
      - .offset:         8
        .size:           8
        .value_kind:     by_value
      - .offset:         16
        .size:           8
        .value_kind:     by_value
      - .address_space:  global
        .offset:         24
        .size:           8
        .value_kind:     global_buffer
      - .offset:         32
        .size:           1
        .value_kind:     by_value
      - .address_space:  global
        .offset:         40
        .size:           8
        .value_kind:     global_buffer
      - .offset:         48
        .size:           8
        .value_kind:     by_value
      - .offset:         56
        .size:           8
        .value_kind:     by_value
      - .offset:         64
        .size:           8
        .value_kind:     by_value
      - .offset:         72
        .size:           8
        .value_kind:     by_value
      - .offset:         80
        .size:           1
        .value_kind:     by_value
      - .address_space:  global
        .offset:         88
        .size:           8
        .value_kind:     global_buffer
      - .offset:         96
        .size:           8
        .value_kind:     by_value
      - .offset:         104
        .size:           8
        .value_kind:     by_value
      - .offset:         112
        .size:           8
        .value_kind:     by_value
      - .offset:         120
        .size:           8
        .value_kind:     by_value
      - .address_space:  global
        .offset:         128
        .size:           8
        .value_kind:     global_buffer
      - .address_space:  global
        .offset:         136
        .size:           8
        .value_kind:     global_buffer
      - .offset:         144
        .size:           8
        .value_kind:     by_value
      - .offset:         152
        .size:           8
        .value_kind:     by_value
      - .offset:         160
        .size:           8
        .value_kind:     by_value
      - .offset:         168
        .size:           8
        .value_kind:     by_value
      - .offset:         176
        .size:           4
        .value_kind:     hidden_block_count_x
      - .offset:         180
        .size:           4
        .value_kind:     hidden_block_count_y
      - .offset:         184
        .size:           4
        .value_kind:     hidden_block_count_z
      - .offset:         188
        .size:           2
        .value_kind:     hidden_group_size_x
      - .offset:         190
        .size:           2
        .value_kind:     hidden_group_size_y
      - .offset:         192
        .size:           2
        .value_kind:     hidden_group_size_z
      - .offset:         194
        .size:           2
        .value_kind:     hidden_remainder_x
      - .offset:         196
        .size:           2
        .value_kind:     hidden_remainder_y
      - .offset:         198
        .size:           2
        .value_kind:     hidden_remainder_z
      - .offset:         216
        .size:           8
        .value_kind:     hidden_global_offset_x
      - .offset:         224
        .size:           8
        .value_kind:     hidden_global_offset_y
      - .offset:         232
        .size:           8
        .value_kind:     hidden_global_offset_z
      - .offset:         240
        .size:           2
        .value_kind:     hidden_grid_dims
    .group_segment_fixed_size: 0
    .kernarg_segment_align: 8
    .kernarg_segment_size: 432
    .language:       OpenCL C
    .language_version:
      - 2
      - 0
    .max_flat_workgroup_size: 1024
    .name:           _ZN9rocsolver6v33100L11gemm_kernelIdlPKdPKPdS6_S4_EEvT0_S7_S7_T1_bT2_lS7_S7_lbT3_lS7_S7_lS8_T4_lS7_S7_l
    .private_segment_fixed_size: 0
    .sgpr_count:     56
    .sgpr_spill_count: 0
    .symbol:         _ZN9rocsolver6v33100L11gemm_kernelIdlPKdPKPdS6_S4_EEvT0_S7_S7_T1_bT2_lS7_S7_lbT3_lS7_S7_lS8_T4_lS7_S7_l.kd
    .uniform_work_group_size: 1
    .uses_dynamic_stack: false
    .vgpr_count:     16
    .vgpr_spill_count: 0
    .wavefront_size: 64
  - .args:
      - .offset:         0
        .size:           8
        .value_kind:     by_value
      - .offset:         8
        .size:           8
        .value_kind:     by_value
      - .offset:         16
        .size:           8
        .value_kind:     by_value
      - .offset:         24
        .size:           8
        .value_kind:     by_value
      - .offset:         32
        .size:           1
        .value_kind:     by_value
      - .address_space:  global
        .offset:         40
        .size:           8
        .value_kind:     global_buffer
      - .offset:         48
        .size:           8
        .value_kind:     by_value
      - .offset:         56
        .size:           8
        .value_kind:     by_value
      - .offset:         64
        .size:           8
        .value_kind:     by_value
      - .offset:         72
        .size:           8
        .value_kind:     by_value
      - .offset:         80
        .size:           1
        .value_kind:     by_value
      - .address_space:  global
        .offset:         88
        .size:           8
        .value_kind:     global_buffer
      - .offset:         96
        .size:           8
        .value_kind:     by_value
      - .offset:         104
        .size:           8
        .value_kind:     by_value
      - .offset:         112
        .size:           8
        .value_kind:     by_value
      - .offset:         120
        .size:           8
        .value_kind:     by_value
      - .offset:         128
        .size:           8
        .value_kind:     by_value
      - .address_space:  global
        .offset:         136
        .size:           8
        .value_kind:     global_buffer
      - .offset:         144
        .size:           8
        .value_kind:     by_value
      - .offset:         152
        .size:           8
        .value_kind:     by_value
      - .offset:         160
        .size:           8
        .value_kind:     by_value
      - .offset:         168
        .size:           8
        .value_kind:     by_value
      - .offset:         176
        .size:           4
        .value_kind:     hidden_block_count_x
      - .offset:         180
        .size:           4
        .value_kind:     hidden_block_count_y
      - .offset:         184
        .size:           4
        .value_kind:     hidden_block_count_z
      - .offset:         188
        .size:           2
        .value_kind:     hidden_group_size_x
      - .offset:         190
        .size:           2
        .value_kind:     hidden_group_size_y
      - .offset:         192
        .size:           2
        .value_kind:     hidden_group_size_z
      - .offset:         194
        .size:           2
        .value_kind:     hidden_remainder_x
      - .offset:         196
        .size:           2
        .value_kind:     hidden_remainder_y
      - .offset:         198
        .size:           2
        .value_kind:     hidden_remainder_z
      - .offset:         216
        .size:           8
        .value_kind:     hidden_global_offset_x
      - .offset:         224
        .size:           8
        .value_kind:     hidden_global_offset_y
      - .offset:         232
        .size:           8
        .value_kind:     hidden_global_offset_z
      - .offset:         240
        .size:           2
        .value_kind:     hidden_grid_dims
    .group_segment_fixed_size: 0
    .kernarg_segment_align: 8
    .kernarg_segment_size: 432
    .language:       OpenCL C
    .language_version:
      - 2
      - 0
    .max_flat_workgroup_size: 1024
    .name:           _ZN9rocsolver6v33100L11gemm_kernelIdldPKPdS4_S2_EEvT0_S5_S5_T1_bT2_lS5_S5_lbT3_lS5_S5_lS6_T4_lS5_S5_l
    .private_segment_fixed_size: 0
    .sgpr_count:     48
    .sgpr_spill_count: 0
    .symbol:         _ZN9rocsolver6v33100L11gemm_kernelIdldPKPdS4_S2_EEvT0_S5_S5_T1_bT2_lS5_S5_lbT3_lS5_S5_lS6_T4_lS5_S5_l.kd
    .uniform_work_group_size: 1
    .uses_dynamic_stack: false
    .vgpr_count:     16
    .vgpr_spill_count: 0
    .wavefront_size: 64
  - .args:
      - .offset:         0
        .size:           4
        .value_kind:     by_value
      - .offset:         4
        .size:           4
        .value_kind:     by_value
      - .offset:         8
        .size:           8
        .value_kind:     by_value
      - .offset:         16
        .size:           8
        .value_kind:     by_value
      - .offset:         24
        .size:           8
        .value_kind:     by_value
      - .address_space:  global
        .offset:         32
        .size:           8
        .value_kind:     global_buffer
      - .address_space:  global
        .offset:         40
        .size:           8
        .value_kind:     global_buffer
      - .offset:         48
        .size:           8
        .value_kind:     by_value
      - .offset:         56
        .size:           8
        .value_kind:     by_value
      - .offset:         64
        .size:           8
        .value_kind:     by_value
      - .offset:         72
        .size:           8
        .value_kind:     by_value
      - .address_space:  global
        .offset:         80
        .size:           8
        .value_kind:     global_buffer
      - .offset:         88
        .size:           8
        .value_kind:     by_value
      - .offset:         96
        .size:           8
        .value_kind:     by_value
      - .offset:         104
        .size:           8
        .value_kind:     by_value
      - .offset:         112
        .size:           8
        .value_kind:     by_value
      - .address_space:  global
        .offset:         120
        .size:           8
        .value_kind:     global_buffer
      - .address_space:  global
        .offset:         128
        .size:           8
        .value_kind:     global_buffer
      - .offset:         136
        .size:           8
        .value_kind:     by_value
      - .offset:         144
        .size:           8
        .value_kind:     by_value
      - .offset:         152
        .size:           8
        .value_kind:     by_value
      - .offset:         160
        .size:           8
        .value_kind:     by_value
    .group_segment_fixed_size: 0
    .kernarg_segment_align: 8
    .kernarg_segment_size: 168
    .language:       OpenCL C
    .language_version:
      - 2
      - 0
    .max_flat_workgroup_size: 1024
    .name:           _ZN9rocsolver6v33100L16mfma_gemm_kernelIdlPKdPKPdS4_S4_EEv18rocblas_operation_S7_T0_S8_S8_T1_T2_lS8_S8_lT3_lS8_S8_lS9_T4_lS8_S8_l
    .private_segment_fixed_size: 0
    .sgpr_count:     4
    .sgpr_spill_count: 0
    .symbol:         _ZN9rocsolver6v33100L16mfma_gemm_kernelIdlPKdPKPdS4_S4_EEv18rocblas_operation_S7_T0_S8_S8_T1_T2_lS8_S8_lT3_lS8_S8_lS9_T4_lS8_S8_l.kd
    .uniform_work_group_size: 1
    .uses_dynamic_stack: false
    .vgpr_count:     0
    .vgpr_spill_count: 0
    .wavefront_size: 64
  - .args:
      - .offset:         0
        .size:           4
        .value_kind:     by_value
      - .offset:         4
        .size:           4
        .value_kind:     by_value
      - .offset:         8
        .size:           8
        .value_kind:     by_value
      - .offset:         16
        .size:           8
        .value_kind:     by_value
      - .offset:         24
        .size:           8
        .value_kind:     by_value
      - .offset:         32
        .size:           8
        .value_kind:     by_value
      - .address_space:  global
        .offset:         40
        .size:           8
        .value_kind:     global_buffer
      - .offset:         48
        .size:           8
        .value_kind:     by_value
      - .offset:         56
        .size:           8
        .value_kind:     by_value
      - .offset:         64
        .size:           8
        .value_kind:     by_value
      - .offset:         72
        .size:           8
        .value_kind:     by_value
      - .address_space:  global
        .offset:         80
        .size:           8
        .value_kind:     global_buffer
      - .offset:         88
        .size:           8
        .value_kind:     by_value
      - .offset:         96
        .size:           8
        .value_kind:     by_value
      - .offset:         104
        .size:           8
        .value_kind:     by_value
      - .offset:         112
        .size:           8
        .value_kind:     by_value
      - .offset:         120
        .size:           8
        .value_kind:     by_value
      - .address_space:  global
        .offset:         128
        .size:           8
        .value_kind:     global_buffer
      - .offset:         136
        .size:           8
        .value_kind:     by_value
      - .offset:         144
        .size:           8
        .value_kind:     by_value
      - .offset:         152
        .size:           8
        .value_kind:     by_value
      - .offset:         160
        .size:           8
        .value_kind:     by_value
    .group_segment_fixed_size: 0
    .kernarg_segment_align: 8
    .kernarg_segment_size: 168
    .language:       OpenCL C
    .language_version:
      - 2
      - 0
    .max_flat_workgroup_size: 1024
    .name:           _ZN9rocsolver6v33100L16mfma_gemm_kernelIdldPKPdS2_S2_EEv18rocblas_operation_S5_T0_S6_S6_T1_T2_lS6_S6_lT3_lS6_S6_lS7_T4_lS6_S6_l
    .private_segment_fixed_size: 0
    .sgpr_count:     4
    .sgpr_spill_count: 0
    .symbol:         _ZN9rocsolver6v33100L16mfma_gemm_kernelIdldPKPdS2_S2_EEv18rocblas_operation_S5_T0_S6_S6_T1_T2_lS6_S6_lT3_lS6_S6_lS7_T4_lS6_S6_l.kd
    .uniform_work_group_size: 1
    .uses_dynamic_stack: false
    .vgpr_count:     0
    .vgpr_spill_count: 0
    .wavefront_size: 64
  - .args:
      - .offset:         0
        .size:           8
        .value_kind:     by_value
      - .offset:         8
        .size:           8
        .value_kind:     by_value
      - .offset:         16
        .size:           8
        .value_kind:     by_value
      - .address_space:  global
        .offset:         24
        .size:           8
        .value_kind:     global_buffer
      - .offset:         32
        .size:           1
        .value_kind:     by_value
      - .address_space:  global
        .offset:         40
        .size:           8
        .value_kind:     global_buffer
      - .offset:         48
        .size:           8
        .value_kind:     by_value
      - .offset:         56
        .size:           8
        .value_kind:     by_value
      - .offset:         64
        .size:           8
        .value_kind:     by_value
      - .offset:         72
        .size:           8
        .value_kind:     by_value
      - .offset:         80
        .size:           1
        .value_kind:     by_value
      - .address_space:  global
        .offset:         88
        .size:           8
        .value_kind:     global_buffer
      - .offset:         96
        .size:           8
        .value_kind:     by_value
      - .offset:         104
        .size:           8
        .value_kind:     by_value
      - .offset:         112
        .size:           8
        .value_kind:     by_value
      - .offset:         120
        .size:           8
        .value_kind:     by_value
      - .address_space:  global
        .offset:         128
        .size:           8
        .value_kind:     global_buffer
      - .address_space:  global
        .offset:         136
        .size:           8
        .value_kind:     global_buffer
      - .offset:         144
        .size:           8
        .value_kind:     by_value
      - .offset:         152
        .size:           8
        .value_kind:     by_value
      - .offset:         160
        .size:           8
        .value_kind:     by_value
      - .offset:         168
        .size:           8
        .value_kind:     by_value
      - .offset:         176
        .size:           4
        .value_kind:     hidden_block_count_x
      - .offset:         180
        .size:           4
        .value_kind:     hidden_block_count_y
      - .offset:         184
        .size:           4
        .value_kind:     hidden_block_count_z
      - .offset:         188
        .size:           2
        .value_kind:     hidden_group_size_x
      - .offset:         190
        .size:           2
        .value_kind:     hidden_group_size_y
      - .offset:         192
        .size:           2
        .value_kind:     hidden_group_size_z
      - .offset:         194
        .size:           2
        .value_kind:     hidden_remainder_x
      - .offset:         196
        .size:           2
        .value_kind:     hidden_remainder_y
      - .offset:         198
        .size:           2
        .value_kind:     hidden_remainder_z
      - .offset:         216
        .size:           8
        .value_kind:     hidden_global_offset_x
      - .offset:         224
        .size:           8
        .value_kind:     hidden_global_offset_y
      - .offset:         232
        .size:           8
        .value_kind:     hidden_global_offset_z
      - .offset:         240
        .size:           2
        .value_kind:     hidden_grid_dims
    .group_segment_fixed_size: 0
    .kernarg_segment_align: 8
    .kernarg_segment_size: 432
    .language:       OpenCL C
    .language_version:
      - 2
      - 0
    .max_flat_workgroup_size: 1024
    .name:           _ZN9rocsolver6v33100L11gemm_kernelIdlPKdPKPdS4_S4_EEvT0_S7_S7_T1_bT2_lS7_S7_lbT3_lS7_S7_lS8_T4_lS7_S7_l
    .private_segment_fixed_size: 0
    .sgpr_count:     48
    .sgpr_spill_count: 0
    .symbol:         _ZN9rocsolver6v33100L11gemm_kernelIdlPKdPKPdS4_S4_EEvT0_S7_S7_T1_bT2_lS7_S7_lbT3_lS7_S7_lS8_T4_lS7_S7_l.kd
    .uniform_work_group_size: 1
    .uses_dynamic_stack: false
    .vgpr_count:     16
    .vgpr_spill_count: 0
    .wavefront_size: 64
  - .args:
      - .offset:         0
        .size:           8
        .value_kind:     by_value
      - .offset:         8
        .size:           8
        .value_kind:     by_value
      - .offset:         16
        .size:           8
        .value_kind:     by_value
      - .offset:         24
        .size:           8
        .value_kind:     by_value
      - .offset:         32
        .size:           1
        .value_kind:     by_value
      - .address_space:  global
        .offset:         40
        .size:           8
        .value_kind:     global_buffer
      - .offset:         48
        .size:           8
        .value_kind:     by_value
      - .offset:         56
        .size:           8
        .value_kind:     by_value
      - .offset:         64
        .size:           8
        .value_kind:     by_value
      - .offset:         72
        .size:           8
        .value_kind:     by_value
      - .offset:         80
        .size:           1
        .value_kind:     by_value
      - .address_space:  global
        .offset:         88
        .size:           8
        .value_kind:     global_buffer
      - .offset:         96
        .size:           8
        .value_kind:     by_value
      - .offset:         104
        .size:           8
        .value_kind:     by_value
      - .offset:         112
        .size:           8
        .value_kind:     by_value
      - .offset:         120
        .size:           8
        .value_kind:     by_value
      - .offset:         128
        .size:           8
        .value_kind:     by_value
      - .address_space:  global
        .offset:         136
        .size:           8
        .value_kind:     global_buffer
      - .offset:         144
        .size:           8
        .value_kind:     by_value
      - .offset:         152
        .size:           8
        .value_kind:     by_value
      - .offset:         160
        .size:           8
        .value_kind:     by_value
      - .offset:         168
        .size:           8
        .value_kind:     by_value
      - .offset:         176
        .size:           4
        .value_kind:     hidden_block_count_x
      - .offset:         180
        .size:           4
        .value_kind:     hidden_block_count_y
      - .offset:         184
        .size:           4
        .value_kind:     hidden_block_count_z
      - .offset:         188
        .size:           2
        .value_kind:     hidden_group_size_x
      - .offset:         190
        .size:           2
        .value_kind:     hidden_group_size_y
      - .offset:         192
        .size:           2
        .value_kind:     hidden_group_size_z
      - .offset:         194
        .size:           2
        .value_kind:     hidden_remainder_x
      - .offset:         196
        .size:           2
        .value_kind:     hidden_remainder_y
      - .offset:         198
        .size:           2
        .value_kind:     hidden_remainder_z
      - .offset:         216
        .size:           8
        .value_kind:     hidden_global_offset_x
      - .offset:         224
        .size:           8
        .value_kind:     hidden_global_offset_y
      - .offset:         232
        .size:           8
        .value_kind:     hidden_global_offset_z
      - .offset:         240
        .size:           2
        .value_kind:     hidden_grid_dims
    .group_segment_fixed_size: 0
    .kernarg_segment_align: 8
    .kernarg_segment_size: 432
    .language:       OpenCL C
    .language_version:
      - 2
      - 0
    .max_flat_workgroup_size: 1024
    .name:           _ZN9rocsolver6v33100L11gemm_kernelIdldPKPdS2_S2_EEvT0_S5_S5_T1_bT2_lS5_S5_lbT3_lS5_S5_lS6_T4_lS5_S5_l
    .private_segment_fixed_size: 0
    .sgpr_count:     48
    .sgpr_spill_count: 0
    .symbol:         _ZN9rocsolver6v33100L11gemm_kernelIdldPKPdS2_S2_EEvT0_S5_S5_T1_bT2_lS5_S5_lbT3_lS5_S5_lS6_T4_lS5_S5_l.kd
    .uniform_work_group_size: 1
    .uses_dynamic_stack: false
    .vgpr_count:     16
    .vgpr_spill_count: 0
    .wavefront_size: 64
  - .args:
      - .offset:         0
        .size:           4
        .value_kind:     by_value
      - .offset:         4
        .size:           4
        .value_kind:     by_value
      - .offset:         8
        .size:           8
        .value_kind:     by_value
      - .offset:         16
        .size:           8
        .value_kind:     by_value
      - .offset:         24
        .size:           8
        .value_kind:     by_value
      - .address_space:  global
        .offset:         32
        .size:           8
        .value_kind:     global_buffer
      - .address_space:  global
        .offset:         40
        .size:           8
        .value_kind:     global_buffer
      - .offset:         48
        .size:           8
        .value_kind:     by_value
      - .offset:         56
        .size:           8
        .value_kind:     by_value
      - .offset:         64
        .size:           8
        .value_kind:     by_value
      - .offset:         72
        .size:           8
        .value_kind:     by_value
      - .address_space:  global
        .offset:         80
        .size:           8
        .value_kind:     global_buffer
      - .offset:         88
        .size:           8
        .value_kind:     by_value
      - .offset:         96
        .size:           8
        .value_kind:     by_value
      - .offset:         104
        .size:           8
        .value_kind:     by_value
      - .offset:         112
        .size:           8
        .value_kind:     by_value
      - .address_space:  global
        .offset:         120
        .size:           8
        .value_kind:     global_buffer
      - .address_space:  global
        .offset:         128
        .size:           8
        .value_kind:     global_buffer
      - .offset:         136
        .size:           8
        .value_kind:     by_value
      - .offset:         144
        .size:           8
        .value_kind:     by_value
      - .offset:         152
        .size:           8
        .value_kind:     by_value
      - .offset:         160
        .size:           8
        .value_kind:     by_value
    .group_segment_fixed_size: 0
    .kernarg_segment_align: 8
    .kernarg_segment_size: 168
    .language:       OpenCL C
    .language_version:
      - 2
      - 0
    .max_flat_workgroup_size: 1024
    .name:           _ZN9rocsolver6v33100L16mfma_gemm_kernelIdlPKdPdPKS4_S4_EEv18rocblas_operation_S7_T0_S8_S8_T1_T2_lS8_S8_lT3_lS8_S8_lS9_T4_lS8_S8_l
    .private_segment_fixed_size: 0
    .sgpr_count:     4
    .sgpr_spill_count: 0
    .symbol:         _ZN9rocsolver6v33100L16mfma_gemm_kernelIdlPKdPdPKS4_S4_EEv18rocblas_operation_S7_T0_S8_S8_T1_T2_lS8_S8_lT3_lS8_S8_lS9_T4_lS8_S8_l.kd
    .uniform_work_group_size: 1
    .uses_dynamic_stack: false
    .vgpr_count:     0
    .vgpr_spill_count: 0
    .wavefront_size: 64
  - .args:
      - .offset:         0
        .size:           4
        .value_kind:     by_value
      - .offset:         4
        .size:           4
        .value_kind:     by_value
      - .offset:         8
        .size:           8
        .value_kind:     by_value
      - .offset:         16
        .size:           8
        .value_kind:     by_value
      - .offset:         24
        .size:           8
        .value_kind:     by_value
      - .offset:         32
        .size:           8
        .value_kind:     by_value
      - .address_space:  global
        .offset:         40
        .size:           8
        .value_kind:     global_buffer
      - .offset:         48
        .size:           8
        .value_kind:     by_value
      - .offset:         56
        .size:           8
        .value_kind:     by_value
      - .offset:         64
        .size:           8
        .value_kind:     by_value
      - .offset:         72
        .size:           8
        .value_kind:     by_value
      - .address_space:  global
        .offset:         80
        .size:           8
        .value_kind:     global_buffer
      - .offset:         88
        .size:           8
        .value_kind:     by_value
      - .offset:         96
        .size:           8
        .value_kind:     by_value
      - .offset:         104
        .size:           8
        .value_kind:     by_value
      - .offset:         112
        .size:           8
        .value_kind:     by_value
      - .offset:         120
        .size:           8
        .value_kind:     by_value
      - .address_space:  global
        .offset:         128
        .size:           8
        .value_kind:     global_buffer
      - .offset:         136
        .size:           8
        .value_kind:     by_value
      - .offset:         144
        .size:           8
        .value_kind:     by_value
      - .offset:         152
        .size:           8
        .value_kind:     by_value
      - .offset:         160
        .size:           8
        .value_kind:     by_value
    .group_segment_fixed_size: 0
    .kernarg_segment_align: 8
    .kernarg_segment_size: 168
    .language:       OpenCL C
    .language_version:
      - 2
      - 0
    .max_flat_workgroup_size: 1024
    .name:           _ZN9rocsolver6v33100L16mfma_gemm_kernelIdldPdPKS2_S2_EEv18rocblas_operation_S5_T0_S6_S6_T1_T2_lS6_S6_lT3_lS6_S6_lS7_T4_lS6_S6_l
    .private_segment_fixed_size: 0
    .sgpr_count:     4
    .sgpr_spill_count: 0
    .symbol:         _ZN9rocsolver6v33100L16mfma_gemm_kernelIdldPdPKS2_S2_EEv18rocblas_operation_S5_T0_S6_S6_T1_T2_lS6_S6_lT3_lS6_S6_lS7_T4_lS6_S6_l.kd
    .uniform_work_group_size: 1
    .uses_dynamic_stack: false
    .vgpr_count:     0
    .vgpr_spill_count: 0
    .wavefront_size: 64
  - .args:
      - .offset:         0
        .size:           8
        .value_kind:     by_value
      - .offset:         8
        .size:           8
        .value_kind:     by_value
      - .offset:         16
        .size:           8
        .value_kind:     by_value
      - .address_space:  global
        .offset:         24
        .size:           8
        .value_kind:     global_buffer
      - .offset:         32
        .size:           1
        .value_kind:     by_value
      - .address_space:  global
        .offset:         40
        .size:           8
        .value_kind:     global_buffer
      - .offset:         48
        .size:           8
        .value_kind:     by_value
      - .offset:         56
        .size:           8
        .value_kind:     by_value
      - .offset:         64
        .size:           8
        .value_kind:     by_value
      - .offset:         72
        .size:           8
        .value_kind:     by_value
      - .offset:         80
        .size:           1
        .value_kind:     by_value
      - .address_space:  global
        .offset:         88
        .size:           8
        .value_kind:     global_buffer
      - .offset:         96
        .size:           8
        .value_kind:     by_value
      - .offset:         104
        .size:           8
        .value_kind:     by_value
      - .offset:         112
        .size:           8
        .value_kind:     by_value
      - .offset:         120
        .size:           8
        .value_kind:     by_value
      - .address_space:  global
        .offset:         128
        .size:           8
        .value_kind:     global_buffer
      - .address_space:  global
        .offset:         136
        .size:           8
        .value_kind:     global_buffer
      - .offset:         144
        .size:           8
        .value_kind:     by_value
      - .offset:         152
        .size:           8
        .value_kind:     by_value
      - .offset:         160
        .size:           8
        .value_kind:     by_value
      - .offset:         168
        .size:           8
        .value_kind:     by_value
      - .offset:         176
        .size:           4
        .value_kind:     hidden_block_count_x
      - .offset:         180
        .size:           4
        .value_kind:     hidden_block_count_y
      - .offset:         184
        .size:           4
        .value_kind:     hidden_block_count_z
      - .offset:         188
        .size:           2
        .value_kind:     hidden_group_size_x
      - .offset:         190
        .size:           2
        .value_kind:     hidden_group_size_y
      - .offset:         192
        .size:           2
        .value_kind:     hidden_group_size_z
      - .offset:         194
        .size:           2
        .value_kind:     hidden_remainder_x
      - .offset:         196
        .size:           2
        .value_kind:     hidden_remainder_y
      - .offset:         198
        .size:           2
        .value_kind:     hidden_remainder_z
      - .offset:         216
        .size:           8
        .value_kind:     hidden_global_offset_x
      - .offset:         224
        .size:           8
        .value_kind:     hidden_global_offset_y
      - .offset:         232
        .size:           8
        .value_kind:     hidden_global_offset_z
      - .offset:         240
        .size:           2
        .value_kind:     hidden_grid_dims
    .group_segment_fixed_size: 0
    .kernarg_segment_align: 8
    .kernarg_segment_size: 432
    .language:       OpenCL C
    .language_version:
      - 2
      - 0
    .max_flat_workgroup_size: 1024
    .name:           _ZN9rocsolver6v33100L11gemm_kernelIdlPKdPdPKS4_S4_EEvT0_S7_S7_T1_bT2_lS7_S7_lbT3_lS7_S7_lS8_T4_lS7_S7_l
    .private_segment_fixed_size: 0
    .sgpr_count:     56
    .sgpr_spill_count: 0
    .symbol:         _ZN9rocsolver6v33100L11gemm_kernelIdlPKdPdPKS4_S4_EEvT0_S7_S7_T1_bT2_lS7_S7_lbT3_lS7_S7_lS8_T4_lS7_S7_l.kd
    .uniform_work_group_size: 1
    .uses_dynamic_stack: false
    .vgpr_count:     16
    .vgpr_spill_count: 0
    .wavefront_size: 64
  - .args:
      - .offset:         0
        .size:           8
        .value_kind:     by_value
      - .offset:         8
        .size:           8
        .value_kind:     by_value
      - .offset:         16
        .size:           8
        .value_kind:     by_value
      - .offset:         24
        .size:           8
        .value_kind:     by_value
      - .offset:         32
        .size:           1
        .value_kind:     by_value
      - .address_space:  global
        .offset:         40
        .size:           8
        .value_kind:     global_buffer
      - .offset:         48
        .size:           8
        .value_kind:     by_value
      - .offset:         56
        .size:           8
        .value_kind:     by_value
      - .offset:         64
        .size:           8
        .value_kind:     by_value
      - .offset:         72
        .size:           8
        .value_kind:     by_value
      - .offset:         80
        .size:           1
        .value_kind:     by_value
      - .address_space:  global
        .offset:         88
        .size:           8
        .value_kind:     global_buffer
      - .offset:         96
        .size:           8
        .value_kind:     by_value
      - .offset:         104
        .size:           8
        .value_kind:     by_value
      - .offset:         112
        .size:           8
        .value_kind:     by_value
      - .offset:         120
        .size:           8
        .value_kind:     by_value
      - .offset:         128
        .size:           8
        .value_kind:     by_value
      - .address_space:  global
        .offset:         136
        .size:           8
        .value_kind:     global_buffer
      - .offset:         144
        .size:           8
        .value_kind:     by_value
      - .offset:         152
        .size:           8
        .value_kind:     by_value
      - .offset:         160
        .size:           8
        .value_kind:     by_value
      - .offset:         168
        .size:           8
        .value_kind:     by_value
      - .offset:         176
        .size:           4
        .value_kind:     hidden_block_count_x
      - .offset:         180
        .size:           4
        .value_kind:     hidden_block_count_y
      - .offset:         184
        .size:           4
        .value_kind:     hidden_block_count_z
      - .offset:         188
        .size:           2
        .value_kind:     hidden_group_size_x
      - .offset:         190
        .size:           2
        .value_kind:     hidden_group_size_y
      - .offset:         192
        .size:           2
        .value_kind:     hidden_group_size_z
      - .offset:         194
        .size:           2
        .value_kind:     hidden_remainder_x
      - .offset:         196
        .size:           2
        .value_kind:     hidden_remainder_y
      - .offset:         198
        .size:           2
        .value_kind:     hidden_remainder_z
      - .offset:         216
        .size:           8
        .value_kind:     hidden_global_offset_x
      - .offset:         224
        .size:           8
        .value_kind:     hidden_global_offset_y
      - .offset:         232
        .size:           8
        .value_kind:     hidden_global_offset_z
      - .offset:         240
        .size:           2
        .value_kind:     hidden_grid_dims
    .group_segment_fixed_size: 0
    .kernarg_segment_align: 8
    .kernarg_segment_size: 432
    .language:       OpenCL C
    .language_version:
      - 2
      - 0
    .max_flat_workgroup_size: 1024
    .name:           _ZN9rocsolver6v33100L11gemm_kernelIdldPdPKS2_S2_EEvT0_S5_S5_T1_bT2_lS5_S5_lbT3_lS5_S5_lS6_T4_lS5_S5_l
    .private_segment_fixed_size: 0
    .sgpr_count:     48
    .sgpr_spill_count: 0
    .symbol:         _ZN9rocsolver6v33100L11gemm_kernelIdldPdPKS2_S2_EEvT0_S5_S5_T1_bT2_lS5_S5_lbT3_lS5_S5_lS6_T4_lS5_S5_l.kd
    .uniform_work_group_size: 1
    .uses_dynamic_stack: false
    .vgpr_count:     16
    .vgpr_spill_count: 0
    .wavefront_size: 64
  - .args:
      - .offset:         0
        .size:           4
        .value_kind:     by_value
      - .offset:         4
        .size:           4
        .value_kind:     by_value
      - .offset:         8
        .size:           8
        .value_kind:     by_value
      - .offset:         16
        .size:           8
        .value_kind:     by_value
      - .offset:         24
        .size:           8
        .value_kind:     by_value
      - .address_space:  global
        .offset:         32
        .size:           8
        .value_kind:     global_buffer
      - .address_space:  global
        .offset:         40
        .size:           8
        .value_kind:     global_buffer
      - .offset:         48
        .size:           8
        .value_kind:     by_value
      - .offset:         56
        .size:           8
        .value_kind:     by_value
      - .offset:         64
        .size:           8
        .value_kind:     by_value
      - .offset:         72
        .size:           8
        .value_kind:     by_value
      - .address_space:  global
        .offset:         80
        .size:           8
        .value_kind:     global_buffer
      - .offset:         88
        .size:           8
        .value_kind:     by_value
      - .offset:         96
        .size:           8
        .value_kind:     by_value
      - .offset:         104
        .size:           8
        .value_kind:     by_value
      - .offset:         112
        .size:           8
        .value_kind:     by_value
      - .address_space:  global
        .offset:         120
        .size:           8
        .value_kind:     global_buffer
      - .address_space:  global
        .offset:         128
        .size:           8
        .value_kind:     global_buffer
      - .offset:         136
        .size:           8
        .value_kind:     by_value
      - .offset:         144
        .size:           8
        .value_kind:     by_value
      - .offset:         152
        .size:           8
        .value_kind:     by_value
      - .offset:         160
        .size:           8
        .value_kind:     by_value
    .group_segment_fixed_size: 0
    .kernarg_segment_align: 8
    .kernarg_segment_size: 168
    .language:       OpenCL C
    .language_version:
      - 2
      - 0
    .max_flat_workgroup_size: 1024
    .name:           _ZN9rocsolver6v33100L16mfma_gemm_kernelIdlPKdPdS4_PKS4_EEv18rocblas_operation_S7_T0_S8_S8_T1_T2_lS8_S8_lT3_lS8_S8_lS9_T4_lS8_S8_l
    .private_segment_fixed_size: 0
    .sgpr_count:     4
    .sgpr_spill_count: 0
    .symbol:         _ZN9rocsolver6v33100L16mfma_gemm_kernelIdlPKdPdS4_PKS4_EEv18rocblas_operation_S7_T0_S8_S8_T1_T2_lS8_S8_lT3_lS8_S8_lS9_T4_lS8_S8_l.kd
    .uniform_work_group_size: 1
    .uses_dynamic_stack: false
    .vgpr_count:     0
    .vgpr_spill_count: 0
    .wavefront_size: 64
  - .args:
      - .offset:         0
        .size:           4
        .value_kind:     by_value
      - .offset:         4
        .size:           4
        .value_kind:     by_value
      - .offset:         8
        .size:           8
        .value_kind:     by_value
      - .offset:         16
        .size:           8
        .value_kind:     by_value
      - .offset:         24
        .size:           8
        .value_kind:     by_value
      - .offset:         32
        .size:           8
        .value_kind:     by_value
      - .address_space:  global
        .offset:         40
        .size:           8
        .value_kind:     global_buffer
      - .offset:         48
        .size:           8
        .value_kind:     by_value
      - .offset:         56
        .size:           8
        .value_kind:     by_value
      - .offset:         64
        .size:           8
        .value_kind:     by_value
      - .offset:         72
        .size:           8
        .value_kind:     by_value
      - .address_space:  global
        .offset:         80
        .size:           8
        .value_kind:     global_buffer
      - .offset:         88
        .size:           8
        .value_kind:     by_value
      - .offset:         96
        .size:           8
        .value_kind:     by_value
      - .offset:         104
        .size:           8
        .value_kind:     by_value
      - .offset:         112
        .size:           8
        .value_kind:     by_value
      - .offset:         120
        .size:           8
        .value_kind:     by_value
      - .address_space:  global
        .offset:         128
        .size:           8
        .value_kind:     global_buffer
      - .offset:         136
        .size:           8
        .value_kind:     by_value
      - .offset:         144
        .size:           8
        .value_kind:     by_value
      - .offset:         152
        .size:           8
        .value_kind:     by_value
      - .offset:         160
        .size:           8
        .value_kind:     by_value
    .group_segment_fixed_size: 0
    .kernarg_segment_align: 8
    .kernarg_segment_size: 168
    .language:       OpenCL C
    .language_version:
      - 2
      - 0
    .max_flat_workgroup_size: 1024
    .name:           _ZN9rocsolver6v33100L16mfma_gemm_kernelIdldPdS2_PKS2_EEv18rocblas_operation_S5_T0_S6_S6_T1_T2_lS6_S6_lT3_lS6_S6_lS7_T4_lS6_S6_l
    .private_segment_fixed_size: 0
    .sgpr_count:     4
    .sgpr_spill_count: 0
    .symbol:         _ZN9rocsolver6v33100L16mfma_gemm_kernelIdldPdS2_PKS2_EEv18rocblas_operation_S5_T0_S6_S6_T1_T2_lS6_S6_lT3_lS6_S6_lS7_T4_lS6_S6_l.kd
    .uniform_work_group_size: 1
    .uses_dynamic_stack: false
    .vgpr_count:     0
    .vgpr_spill_count: 0
    .wavefront_size: 64
  - .args:
      - .offset:         0
        .size:           8
        .value_kind:     by_value
      - .offset:         8
        .size:           8
        .value_kind:     by_value
      - .offset:         16
        .size:           8
        .value_kind:     by_value
      - .address_space:  global
        .offset:         24
        .size:           8
        .value_kind:     global_buffer
      - .offset:         32
        .size:           1
        .value_kind:     by_value
      - .address_space:  global
        .offset:         40
        .size:           8
        .value_kind:     global_buffer
      - .offset:         48
        .size:           8
        .value_kind:     by_value
      - .offset:         56
        .size:           8
        .value_kind:     by_value
      - .offset:         64
        .size:           8
        .value_kind:     by_value
      - .offset:         72
        .size:           8
        .value_kind:     by_value
      - .offset:         80
        .size:           1
        .value_kind:     by_value
      - .address_space:  global
        .offset:         88
        .size:           8
        .value_kind:     global_buffer
      - .offset:         96
        .size:           8
        .value_kind:     by_value
      - .offset:         104
        .size:           8
        .value_kind:     by_value
      - .offset:         112
        .size:           8
        .value_kind:     by_value
      - .offset:         120
        .size:           8
        .value_kind:     by_value
      - .address_space:  global
        .offset:         128
        .size:           8
        .value_kind:     global_buffer
      - .address_space:  global
        .offset:         136
        .size:           8
        .value_kind:     global_buffer
      - .offset:         144
        .size:           8
        .value_kind:     by_value
      - .offset:         152
        .size:           8
        .value_kind:     by_value
      - .offset:         160
        .size:           8
        .value_kind:     by_value
      - .offset:         168
        .size:           8
        .value_kind:     by_value
      - .offset:         176
        .size:           4
        .value_kind:     hidden_block_count_x
      - .offset:         180
        .size:           4
        .value_kind:     hidden_block_count_y
      - .offset:         184
        .size:           4
        .value_kind:     hidden_block_count_z
      - .offset:         188
        .size:           2
        .value_kind:     hidden_group_size_x
      - .offset:         190
        .size:           2
        .value_kind:     hidden_group_size_y
      - .offset:         192
        .size:           2
        .value_kind:     hidden_group_size_z
      - .offset:         194
        .size:           2
        .value_kind:     hidden_remainder_x
      - .offset:         196
        .size:           2
        .value_kind:     hidden_remainder_y
      - .offset:         198
        .size:           2
        .value_kind:     hidden_remainder_z
      - .offset:         216
        .size:           8
        .value_kind:     hidden_global_offset_x
      - .offset:         224
        .size:           8
        .value_kind:     hidden_global_offset_y
      - .offset:         232
        .size:           8
        .value_kind:     hidden_global_offset_z
      - .offset:         240
        .size:           2
        .value_kind:     hidden_grid_dims
    .group_segment_fixed_size: 0
    .kernarg_segment_align: 8
    .kernarg_segment_size: 432
    .language:       OpenCL C
    .language_version:
      - 2
      - 0
    .max_flat_workgroup_size: 1024
    .name:           _ZN9rocsolver6v33100L11gemm_kernelIdlPKdPdS4_PKS4_EEvT0_S7_S7_T1_bT2_lS7_S7_lbT3_lS7_S7_lS8_T4_lS7_S7_l
    .private_segment_fixed_size: 0
    .sgpr_count:     48
    .sgpr_spill_count: 0
    .symbol:         _ZN9rocsolver6v33100L11gemm_kernelIdlPKdPdS4_PKS4_EEvT0_S7_S7_T1_bT2_lS7_S7_lbT3_lS7_S7_lS8_T4_lS7_S7_l.kd
    .uniform_work_group_size: 1
    .uses_dynamic_stack: false
    .vgpr_count:     16
    .vgpr_spill_count: 0
    .wavefront_size: 64
  - .args:
      - .offset:         0
        .size:           8
        .value_kind:     by_value
      - .offset:         8
        .size:           8
        .value_kind:     by_value
      - .offset:         16
        .size:           8
        .value_kind:     by_value
      - .offset:         24
        .size:           8
        .value_kind:     by_value
      - .offset:         32
        .size:           1
        .value_kind:     by_value
      - .address_space:  global
        .offset:         40
        .size:           8
        .value_kind:     global_buffer
      - .offset:         48
        .size:           8
        .value_kind:     by_value
      - .offset:         56
        .size:           8
        .value_kind:     by_value
      - .offset:         64
        .size:           8
        .value_kind:     by_value
      - .offset:         72
        .size:           8
        .value_kind:     by_value
      - .offset:         80
        .size:           1
        .value_kind:     by_value
      - .address_space:  global
        .offset:         88
        .size:           8
        .value_kind:     global_buffer
      - .offset:         96
        .size:           8
        .value_kind:     by_value
      - .offset:         104
        .size:           8
        .value_kind:     by_value
      - .offset:         112
        .size:           8
        .value_kind:     by_value
      - .offset:         120
        .size:           8
        .value_kind:     by_value
      - .offset:         128
        .size:           8
        .value_kind:     by_value
      - .address_space:  global
        .offset:         136
        .size:           8
        .value_kind:     global_buffer
      - .offset:         144
        .size:           8
        .value_kind:     by_value
      - .offset:         152
        .size:           8
        .value_kind:     by_value
      - .offset:         160
        .size:           8
        .value_kind:     by_value
      - .offset:         168
        .size:           8
        .value_kind:     by_value
      - .offset:         176
        .size:           4
        .value_kind:     hidden_block_count_x
      - .offset:         180
        .size:           4
        .value_kind:     hidden_block_count_y
      - .offset:         184
        .size:           4
        .value_kind:     hidden_block_count_z
      - .offset:         188
        .size:           2
        .value_kind:     hidden_group_size_x
      - .offset:         190
        .size:           2
        .value_kind:     hidden_group_size_y
      - .offset:         192
        .size:           2
        .value_kind:     hidden_group_size_z
      - .offset:         194
        .size:           2
        .value_kind:     hidden_remainder_x
      - .offset:         196
        .size:           2
        .value_kind:     hidden_remainder_y
      - .offset:         198
        .size:           2
        .value_kind:     hidden_remainder_z
      - .offset:         216
        .size:           8
        .value_kind:     hidden_global_offset_x
      - .offset:         224
        .size:           8
        .value_kind:     hidden_global_offset_y
      - .offset:         232
        .size:           8
        .value_kind:     hidden_global_offset_z
      - .offset:         240
        .size:           2
        .value_kind:     hidden_grid_dims
    .group_segment_fixed_size: 0
    .kernarg_segment_align: 8
    .kernarg_segment_size: 432
    .language:       OpenCL C
    .language_version:
      - 2
      - 0
    .max_flat_workgroup_size: 1024
    .name:           _ZN9rocsolver6v33100L11gemm_kernelIdldPdS2_PKS2_EEvT0_S5_S5_T1_bT2_lS5_S5_lbT3_lS5_S5_lS6_T4_lS5_S5_l
    .private_segment_fixed_size: 0
    .sgpr_count:     48
    .sgpr_spill_count: 0
    .symbol:         _ZN9rocsolver6v33100L11gemm_kernelIdldPdS2_PKS2_EEvT0_S5_S5_T1_bT2_lS5_S5_lbT3_lS5_S5_lS6_T4_lS5_S5_l.kd
    .uniform_work_group_size: 1
    .uses_dynamic_stack: false
    .vgpr_count:     16
    .vgpr_spill_count: 0
    .wavefront_size: 64
amdhsa.target:   amdgcn-amd-amdhsa--gfx906
amdhsa.version:
  - 1
  - 2
...

	.end_amdgpu_metadata
